;; amdgpu-corpus repo=ROCm/rocFFT kind=compiled arch=gfx1030 opt=O3
	.text
	.amdgcn_target "amdgcn-amd-amdhsa--gfx1030"
	.amdhsa_code_object_version 6
	.protected	bluestein_single_back_len1980_dim1_half_op_CI_CI ; -- Begin function bluestein_single_back_len1980_dim1_half_op_CI_CI
	.globl	bluestein_single_back_len1980_dim1_half_op_CI_CI
	.p2align	8
	.type	bluestein_single_back_len1980_dim1_half_op_CI_CI,@function
bluestein_single_back_len1980_dim1_half_op_CI_CI: ; @bluestein_single_back_len1980_dim1_half_op_CI_CI
; %bb.0:
	s_load_dwordx4 s[0:3], s[4:5], 0x28
	v_mul_u32_u24_e32 v1, 0x14b, v0
	v_mov_b32_e32 v5, 0
	v_lshrrev_b32_e32 v1, 16, v1
	v_add_nc_u32_e32 v4, s6, v1
	s_waitcnt lgkmcnt(0)
	v_cmp_gt_u64_e32 vcc_lo, s[0:1], v[4:5]
	s_and_saveexec_b32 s0, vcc_lo
	s_cbranch_execz .LBB0_31
; %bb.1:
	s_clause 0x1
	s_load_dwordx2 s[14:15], s[4:5], 0x0
	s_load_dwordx2 s[12:13], s[4:5], 0x38
	v_mul_lo_u16 v1, 0xc6, v1
	v_sub_nc_u16 v0, v0, v1
	v_and_b32_e32 v32, 0xffff, v0
	v_cmp_gt_u16_e32 vcc_lo, 0xb4, v0
	v_lshlrev_b32_e32 v31, 2, v32
	s_and_saveexec_b32 s1, vcc_lo
	s_cbranch_execz .LBB0_3
; %bb.2:
	s_load_dwordx2 s[6:7], s[4:5], 0x18
	s_waitcnt lgkmcnt(0)
	v_add_co_u32 v9, s0, s14, v31
	v_add_co_ci_u32_e64 v10, null, s15, 0, s0
	v_add_nc_u32_e32 v28, 0xb00, v31
	s_load_dwordx4 s[8:11], s[6:7], 0x0
	s_clause 0x2
	global_load_dword v11, v31, s[14:15]
	global_load_dword v12, v31, s[14:15] offset:720
	global_load_dword v13, v31, s[14:15] offset:1440
	s_waitcnt lgkmcnt(0)
	v_mad_u64_u32 v[0:1], null, s10, v4, 0
	v_mad_u64_u32 v[2:3], null, s8, v32, 0
	s_mul_i32 s6, s9, 0x2d0
	s_mul_hi_u32 s7, s8, 0x2d0
	s_add_i32 s7, s7, s6
	v_mad_u64_u32 v[5:6], null, s11, v4, v[1:2]
	v_mad_u64_u32 v[6:7], null, s9, v32, v[3:4]
	v_add_co_u32 v7, s0, 0x800, v9
	v_add_co_ci_u32_e64 v8, s0, 0, v10, s0
	v_mov_b32_e32 v1, v5
	v_add_co_u32 v5, s0, 0x1000, v9
	v_mov_b32_e32 v3, v6
	v_add_co_ci_u32_e64 v6, s0, 0, v10, s0
	v_lshlrev_b64 v[0:1], 2, v[0:1]
	v_lshlrev_b64 v[2:3], 2, v[2:3]
	v_add_co_u32 v0, s0, s2, v0
	v_add_co_ci_u32_e64 v1, s0, s3, v1, s0
	s_mul_i32 s2, s8, 0x2d0
	v_add_co_u32 v0, s0, v0, v2
	v_add_co_ci_u32_e64 v1, s0, v1, v3, s0
	v_add_co_u32 v2, s0, v0, s2
	v_add_co_ci_u32_e64 v3, s0, s7, v1, s0
	s_clause 0x1
	global_load_dword v14, v[0:1], off
	global_load_dword v15, v[2:3], off
	v_add_co_u32 v0, s0, v2, s2
	v_add_co_ci_u32_e64 v1, s0, s7, v3, s0
	v_add_co_u32 v2, s0, v0, s2
	v_add_co_ci_u32_e64 v3, s0, s7, v1, s0
	s_clause 0x2
	global_load_dword v16, v[7:8], off offset:112
	global_load_dword v17, v[7:8], off offset:832
	;; [unrolled: 1-line block ×3, first 2 shown]
	s_clause 0x1
	global_load_dword v8, v[0:1], off
	global_load_dword v18, v[2:3], off
	v_add_co_u32 v0, s0, v2, s2
	v_add_co_ci_u32_e64 v1, s0, s7, v3, s0
	s_clause 0x2
	global_load_dword v19, v[5:6], off offset:224
	global_load_dword v20, v[5:6], off offset:944
	;; [unrolled: 1-line block ×3, first 2 shown]
	v_add_co_u32 v2, s0, v0, s2
	v_add_co_ci_u32_e64 v3, s0, s7, v1, s0
	global_load_dword v22, v[0:1], off
	v_add_co_u32 v0, s0, v2, s2
	v_add_co_ci_u32_e64 v1, s0, s7, v3, s0
	global_load_dword v23, v[2:3], off
	v_add_co_u32 v2, s0, v0, s2
	v_add_co_ci_u32_e64 v3, s0, s7, v1, s0
	global_load_dword v24, v[0:1], off
	v_add_co_u32 v0, s0, v2, s2
	v_add_co_ci_u32_e64 v1, s0, s7, v3, s0
	global_load_dword v25, v[2:3], off
	v_add_co_u32 v2, s0, v0, s2
	v_add_co_ci_u32_e64 v3, s0, s7, v1, s0
	global_load_dword v26, v[0:1], off
	v_add_co_u32 v0, s0, v2, s2
	v_add_co_ci_u32_e64 v1, s0, s7, v3, s0
	v_add_co_u32 v5, s0, 0x1800, v9
	v_add_co_ci_u32_e64 v6, s0, 0, v10, s0
	global_load_dword v2, v[2:3], off
	global_load_dword v0, v[0:1], off
	s_clause 0x1
	global_load_dword v1, v[5:6], off offset:336
	global_load_dword v3, v[5:6], off offset:1056
	v_add_nc_u32_e32 v6, 0x500, v31
	s_waitcnt vmcnt(18)
	v_lshrrev_b32_e32 v5, 16, v14
	v_mul_f16_sdwa v9, v11, v14 dst_sel:DWORD dst_unused:UNUSED_PAD src0_sel:WORD_1 src1_sel:DWORD
	s_waitcnt vmcnt(17)
	v_lshrrev_b32_e32 v27, 16, v15
	v_mul_f16_sdwa v29, v12, v15 dst_sel:DWORD dst_unused:UNUSED_PAD src0_sel:WORD_1 src1_sel:DWORD
	v_mul_f16_sdwa v10, v11, v5 dst_sel:DWORD dst_unused:UNUSED_PAD src0_sel:WORD_1 src1_sel:DWORD
	v_fma_f16 v5, v11, v5, -v9
	v_mul_f16_sdwa v9, v12, v27 dst_sel:DWORD dst_unused:UNUSED_PAD src0_sel:WORD_1 src1_sel:DWORD
	v_fmac_f16_e32 v10, v11, v14
	v_fma_f16 v14, v12, v27, -v29
	s_waitcnt vmcnt(13)
	v_lshrrev_b32_e32 v11, 16, v8
	v_mul_f16_sdwa v27, v13, v8 dst_sel:DWORD dst_unused:UNUSED_PAD src0_sel:WORD_1 src1_sel:DWORD
	v_fmac_f16_e32 v9, v12, v15
	v_pack_b32_f16 v5, v10, v5
	s_waitcnt vmcnt(12)
	v_lshrrev_b32_e32 v12, 16, v18
	v_mul_f16_sdwa v10, v13, v11 dst_sel:DWORD dst_unused:UNUSED_PAD src0_sel:WORD_1 src1_sel:DWORD
	v_mul_f16_sdwa v15, v16, v18 dst_sel:DWORD dst_unused:UNUSED_PAD src0_sel:WORD_1 src1_sel:DWORD
	v_fma_f16 v11, v13, v11, -v27
	v_pack_b32_f16 v9, v9, v14
	v_fmac_f16_e32 v10, v13, v8
	v_mul_f16_sdwa v8, v16, v12 dst_sel:DWORD dst_unused:UNUSED_PAD src0_sel:WORD_1 src1_sel:DWORD
	s_waitcnt vmcnt(8)
	v_lshrrev_b32_e32 v13, 16, v22
	v_fma_f16 v12, v16, v12, -v15
	v_mul_f16_sdwa v14, v17, v22 dst_sel:DWORD dst_unused:UNUSED_PAD src0_sel:WORD_1 src1_sel:DWORD
	ds_write2_b32 v31, v5, v9 offset1:180
	v_pack_b32_f16 v5, v10, v11
	v_fmac_f16_e32 v8, v16, v18
	v_mul_f16_sdwa v9, v17, v13 dst_sel:DWORD dst_unused:UNUSED_PAD src0_sel:WORD_1 src1_sel:DWORD
	s_waitcnt vmcnt(7)
	v_lshrrev_b32_e32 v10, 16, v23
	v_fma_f16 v11, v17, v13, -v14
	v_mul_f16_sdwa v13, v7, v23 dst_sel:DWORD dst_unused:UNUSED_PAD src0_sel:WORD_1 src1_sel:DWORD
	v_pack_b32_f16 v8, v8, v12
	v_fmac_f16_e32 v9, v17, v22
	v_mul_f16_sdwa v12, v7, v10 dst_sel:DWORD dst_unused:UNUSED_PAD src0_sel:WORD_1 src1_sel:DWORD
	s_waitcnt vmcnt(6)
	v_lshrrev_b32_e32 v14, 16, v24
	v_fma_f16 v10, v7, v10, -v13
	v_mul_f16_sdwa v13, v19, v24 dst_sel:DWORD dst_unused:UNUSED_PAD src0_sel:WORD_1 src1_sel:DWORD
	v_pack_b32_f16 v9, v9, v11
	v_fmac_f16_e32 v12, v7, v23
	s_waitcnt vmcnt(5)
	v_lshrrev_b32_e32 v11, 16, v25
	v_mul_f16_sdwa v7, v19, v14 dst_sel:DWORD dst_unused:UNUSED_PAD src0_sel:WORD_1 src1_sel:DWORD
	v_fma_f16 v13, v19, v14, -v13
	v_mul_f16_sdwa v14, v20, v25 dst_sel:DWORD dst_unused:UNUSED_PAD src0_sel:WORD_1 src1_sel:DWORD
	v_pack_b32_f16 v10, v12, v10
	v_mul_f16_sdwa v12, v20, v11 dst_sel:DWORD dst_unused:UNUSED_PAD src0_sel:WORD_1 src1_sel:DWORD
	v_fmac_f16_e32 v7, v19, v24
	s_waitcnt vmcnt(4)
	v_lshrrev_b32_e32 v15, 16, v26
	v_fma_f16 v11, v20, v11, -v14
	v_mul_f16_sdwa v14, v21, v26 dst_sel:DWORD dst_unused:UNUSED_PAD src0_sel:WORD_1 src1_sel:DWORD
	v_fmac_f16_e32 v12, v20, v25
	s_waitcnt vmcnt(3)
	v_lshrrev_b32_e32 v16, 16, v2
	s_waitcnt vmcnt(2)
	v_lshrrev_b32_e32 v17, 16, v0
	v_pack_b32_f16 v7, v7, v13
	v_mul_f16_sdwa v13, v21, v15 dst_sel:DWORD dst_unused:UNUSED_PAD src0_sel:WORD_1 src1_sel:DWORD
	v_fma_f16 v14, v21, v15, -v14
	s_waitcnt vmcnt(1)
	v_mul_f16_sdwa v15, v1, v2 dst_sel:DWORD dst_unused:UNUSED_PAD src0_sel:WORD_1 src1_sel:DWORD
	v_pack_b32_f16 v11, v12, v11
	v_mul_f16_sdwa v12, v1, v16 dst_sel:DWORD dst_unused:UNUSED_PAD src0_sel:WORD_1 src1_sel:DWORD
	s_waitcnt vmcnt(0)
	v_mul_f16_sdwa v18, v3, v17 dst_sel:DWORD dst_unused:UNUSED_PAD src0_sel:WORD_1 src1_sel:DWORD
	v_mul_f16_sdwa v19, v3, v0 dst_sel:DWORD dst_unused:UNUSED_PAD src0_sel:WORD_1 src1_sel:DWORD
	v_fmac_f16_e32 v13, v21, v26
	v_fma_f16 v15, v1, v16, -v15
	v_fmac_f16_e32 v12, v1, v2
	v_fmac_f16_e32 v18, v3, v0
	v_fma_f16 v0, v3, v17, -v19
	v_add_nc_u32_e32 v1, 0x1000, v31
	v_pack_b32_f16 v2, v13, v14
	v_pack_b32_f16 v3, v12, v15
	v_add_nc_u32_e32 v12, 0x1600, v31
	v_pack_b32_f16 v0, v18, v0
	ds_write2_b32 v6, v5, v8 offset0:40 offset1:220
	ds_write2_b32 v28, v9, v10 offset0:16 offset1:196
	ds_write2_b32 v1, v7, v11 offset0:56 offset1:236
	ds_write2_b32 v12, v2, v3 offset0:32 offset1:212
	ds_write_b32 v31, v0 offset:7200
.LBB0_3:
	s_or_b32 exec_lo, exec_lo, s1
	s_clause 0x1
	s_load_dwordx2 s[0:1], s[4:5], 0x20
	s_load_dwordx2 s[2:3], s[4:5], 0x8
	v_mov_b32_e32 v0, 0
	s_waitcnt lgkmcnt(0)
	s_barrier
	buffer_gl0_inv
                                        ; implicit-def: $vgpr11
                                        ; implicit-def: $vgpr3
                                        ; implicit-def: $vgpr6
                                        ; implicit-def: $vgpr8
                                        ; implicit-def: $vgpr10
                                        ; kill: def $vgpr1 killed $sgpr0 killed $exec
	s_and_saveexec_b32 s4, vcc_lo
	s_cbranch_execz .LBB0_5
; %bb.4:
	v_add_nc_u32_e32 v2, 0x500, v31
	v_add_nc_u32_e32 v3, 0xb00, v31
	;; [unrolled: 1-line block ×4, first 2 shown]
	ds_read2_b32 v[0:1], v31 offset1:180
	ds_read2_b32 v[9:10], v2 offset0:40 offset1:220
	ds_read2_b32 v[7:8], v3 offset0:16 offset1:196
	;; [unrolled: 1-line block ×4, first 2 shown]
	ds_read_b32 v11, v31 offset:7200
.LBB0_5:
	s_or_b32 exec_lo, exec_lo, s4
	s_waitcnt lgkmcnt(0)
	v_pk_add_f16 v12, v1, v11 neg_lo:[0,1] neg_hi:[0,1]
	v_mov_b32_e32 v42, 0xb853
	v_pk_add_f16 v19, v11, v1
	v_pk_add_f16 v14, v9, v3 neg_lo:[0,1] neg_hi:[0,1]
	v_mov_b32_e32 v45, 0xbb47
	v_pk_add_f16 v20, v3, v9
	v_mul_f16_sdwa v24, v12, v42 dst_sel:DWORD dst_unused:UNUSED_PAD src0_sel:WORD_1 src1_sel:DWORD
	v_pk_add_f16 v13, v10, v2 neg_lo:[0,1] neg_hi:[0,1]
	v_lshrrev_b32_e32 v38, 16, v19
	v_mul_f16_e32 v30, 0xb853, v12
	v_mul_f16_sdwa v26, v14, v45 dst_sel:DWORD dst_unused:UNUSED_PAD src0_sel:WORD_1 src1_sel:DWORD
	v_fmamk_f16 v15, v19, 0x3abb, v24
	v_mov_b32_e32 v16, 0xbbeb
	v_lshrrev_b32_e32 v37, 16, v20
	v_fma_f16 v17, v38, 0x3abb, -v30
	v_fmamk_f16 v18, v20, 0x36a6, v26
	v_add_f16_e32 v15, v15, v0
	v_mul_f16_e32 v35, 0xbb47, v14
	v_pk_add_f16 v23, v2, v10
	v_mul_f16_sdwa v25, v13, v16 dst_sel:DWORD dst_unused:UNUSED_PAD src0_sel:WORD_1 src1_sel:DWORD
	v_add_f16_sdwa v17, v17, v0 dst_sel:DWORD dst_unused:UNUSED_PAD src0_sel:DWORD src1_sel:WORD_1
	v_add_f16_e32 v15, v18, v15
	v_fma_f16 v16, v37, 0x36a6, -v35
	v_lshrrev_b32_e32 v39, 16, v23
	v_mul_f16_e32 v28, 0xbbeb, v13
	v_fmamk_f16 v22, v23, 0xb08e, v25
	v_pk_add_f16 v18, v7, v6 neg_lo:[0,1] neg_hi:[0,1]
	v_mov_b32_e32 v44, 0xba0c
	v_pk_add_f16 v21, v6, v7
	v_add_f16_e32 v16, v16, v17
	v_add_f16_e32 v15, v22, v15
	v_fma_f16 v33, v39, 0xb08e, -v28
	v_mul_f16_sdwa v27, v18, v44 dst_sel:DWORD dst_unused:UNUSED_PAD src0_sel:WORD_1 src1_sel:DWORD
	v_lshrrev_b32_e32 v41, 16, v21
	v_mul_f16_e32 v29, 0xba0c, v18
	v_pk_add_f16 v17, v8, v5 neg_lo:[0,1] neg_hi:[0,1]
	v_mov_b32_e32 v43, 0xb482
	v_pk_add_f16 v22, v5, v8
	v_add_f16_e32 v16, v33, v16
	v_fmamk_f16 v34, v21, 0xb93d, v27
	v_fma_f16 v46, v41, 0xb93d, -v29
	v_mul_f16_sdwa v33, v17, v43 dst_sel:DWORD dst_unused:UNUSED_PAD src0_sel:WORD_1 src1_sel:DWORD
	v_lshrrev_b32_e32 v40, 16, v22
	v_mul_f16_e32 v36, 0xb482, v17
	v_add_f16_e32 v15, v34, v15
	v_add_f16_e32 v16, v46, v16
	v_fmamk_f16 v34, v22, 0xbbad, v33
	v_fma_f16 v46, v40, 0xbbad, -v36
	s_barrier
	buffer_gl0_inv
	v_add_f16_e32 v15, v34, v15
	v_mul_lo_u16 v34, v32, 11
	v_add_f16_e32 v16, v46, v16
	s_and_saveexec_b32 s4, vcc_lo
	s_cbranch_execz .LBB0_7
; %bb.6:
	v_pk_add_f16 v1, v1, v0
	v_mul_f16_sdwa v45, v12, v45 dst_sel:DWORD dst_unused:UNUSED_PAD src0_sel:WORD_1 src1_sel:DWORD
	v_mul_f16_sdwa v47, v14, v44 dst_sel:DWORD dst_unused:UNUSED_PAD src0_sel:WORD_1 src1_sel:DWORD
	v_mov_b32_e32 v48, 0x3482
	v_mul_f16_e32 v49, 0xb08e, v38
	v_pk_add_f16 v1, v9, v1
	v_fmamk_f16 v50, v19, 0x36a6, v45
	v_fmamk_f16 v52, v20, 0xb93d, v47
	v_mul_f16_sdwa v48, v13, v48 dst_sel:DWORD dst_unused:UNUSED_PAD src0_sel:WORD_1 src1_sel:DWORD
	v_mov_b32_e32 v54, 0x3beb
	v_pk_add_f16 v1, v10, v1
	v_add_f16_e32 v50, v50, v0
	v_mul_f16_e32 v51, 0xbbad, v37
	v_fmamk_f16 v53, v12, 0x3beb, v49
	v_fmamk_f16 v56, v23, 0xbbad, v48
	v_pk_add_f16 v1, v7, v1
	v_mul_f16_sdwa v7, v12, v44 dst_sel:DWORD dst_unused:UNUSED_PAD src0_sel:WORD_1 src1_sel:DWORD
	v_add_f16_e32 v50, v52, v50
	v_mul_f16_sdwa v58, v18, v54 dst_sel:DWORD dst_unused:UNUSED_PAD src0_sel:WORD_1 src1_sel:DWORD
	v_mul_f16_sdwa v54, v14, v54 dst_sel:DWORD dst_unused:UNUSED_PAD src0_sel:WORD_1 src1_sel:DWORD
	v_pk_add_f16 v1, v8, v1
	v_fmamk_f16 v8, v19, 0xb93d, v7
	v_pk_mul_f16 v46, 0x36a6b08e, v19
	v_fmamk_f16 v55, v14, 0xb482, v51
	v_add_f16_sdwa v53, v53, v0 dst_sel:DWORD dst_unused:UNUSED_PAD src0_sel:DWORD src1_sel:WORD_1
	v_mul_f16_e32 v52, 0x36a6, v39
	v_mov_b32_e32 v57, 0x3853
	v_add_f16_e32 v50, v56, v50
	v_fmamk_f16 v59, v21, 0xb08e, v58
	v_add_f16_e32 v8, v8, v0
	v_fmamk_f16 v65, v20, 0xb08e, v54
	v_mul_f16_sdwa v42, v13, v42 dst_sel:DWORD dst_unused:UNUSED_PAD src0_sel:WORD_1 src1_sel:DWORD
	v_fma_f16 v7, v19, 0xb93d, -v7
	v_add_f16_e32 v53, v55, v53
	v_fmamk_f16 v55, v13, 0xbb47, v52
	v_mul_f16_e32 v56, 0x3abb, v41
	v_mul_f16_sdwa v57, v17, v57 dst_sel:DWORD dst_unused:UNUSED_PAD src0_sel:WORD_1 src1_sel:DWORD
	v_add_f16_e32 v50, v59, v50
	v_pk_fma_f16 v9, 0xbbebbb47, v12, v46 op_sel:[0,0,1] op_sel_hi:[1,1,0]
	v_pk_mul_f16 v59, 0xb93dbbad, v20
	v_add_f16_e32 v8, v65, v8
	v_fmamk_f16 v65, v23, 0x3abb, v42
	v_mul_f16_sdwa v43, v18, v43 dst_sel:DWORD dst_unused:UNUSED_PAD src0_sel:WORD_1 src1_sel:DWORD
	v_add_f16_e32 v7, v7, v0
	v_fma_f16 v54, v20, 0xb08e, -v54
	v_add_f16_e32 v53, v55, v53
	v_fmamk_f16 v55, v18, 0x3853, v56
	v_mul_f16_e32 v60, 0xb93d, v40
	v_fmamk_f16 v61, v22, 0x3abb, v57
	v_alignbit_b32 v62, s0, v9, 16
	v_pk_fma_f16 v63, 0x3482ba0c, v14, v59 op_sel:[0,0,1] op_sel_hi:[1,1,0]
	v_pk_mul_f16 v64, 0xbbad36a6, v23
	v_add_f16_e32 v8, v65, v8
	v_fmamk_f16 v65, v21, 0xbbad, v43
	v_mov_b32_e32 v68, 0x3b47
	v_add_f16_e32 v7, v54, v7
	v_fma_f16 v42, v23, 0x3abb, -v42
	v_add_f16_e32 v53, v55, v53
	v_fmamk_f16 v55, v17, 0x3a0c, v60
	v_add_f16_e32 v10, v61, v50
	v_pk_add_f16 v50, v62, v0
	v_alignbit_b32 v61, s0, v63, 16
	v_pk_fma_f16 v62, 0x3b473482, v13, v64 op_sel:[0,0,1] op_sel_hi:[1,1,0]
	v_add_f16_e32 v8, v65, v8
	v_mul_f16_sdwa v65, v17, v68 dst_sel:DWORD dst_unused:UNUSED_PAD src0_sel:WORD_1 src1_sel:DWORD
	v_add_f16_e32 v7, v42, v7
	v_fma_f16 v42, v21, 0xbbad, -v43
	v_add_f16_e32 v53, v55, v53
	v_pk_add_f16 v44, v61, v50
	v_alignbit_b32 v50, s0, v62, 16
	v_mul_f16_e32 v55, 0xb93d, v38
	v_fmac_f16_e32 v49, 0xbbeb, v12
	v_add_f16_e32 v7, v42, v7
	v_fma_f16 v42, v22, 0x36a6, -v65
	v_pk_add_f16 v44, v50, v44
	v_fmamk_f16 v50, v12, 0x3a0c, v55
	v_mul_f16_e32 v61, 0xb08e, v37
	v_fmac_f16_e32 v55, 0xba0c, v12
	v_add_f16_sdwa v49, v49, v0 dst_sel:DWORD dst_unused:UNUSED_PAD src0_sel:DWORD src1_sel:WORD_1
	v_fmac_f16_e32 v51, 0x3482, v14
	v_add_f16_e32 v7, v42, v7
	v_mul_f16_e32 v42, 0x3abb, v19
	v_mul_f16_e32 v38, 0x3abb, v38
	v_add_f16_sdwa v50, v50, v0 dst_sel:DWORD dst_unused:UNUSED_PAD src0_sel:DWORD src1_sel:WORD_1
	v_fmamk_f16 v66, v14, 0xbbeb, v61
	v_mul_f16_e32 v67, 0x3abb, v39
	v_add_f16_sdwa v55, v55, v0 dst_sel:DWORD dst_unused:UNUSED_PAD src0_sel:DWORD src1_sel:WORD_1
	v_fmac_f16_e32 v61, 0x3beb, v14
	v_add_f16_e32 v49, v51, v49
	v_fmac_f16_e32 v52, 0x3b47, v13
	v_fma_f16 v45, v19, 0x36a6, -v45
	v_mul_f16_e32 v51, 0x36a6, v20
	v_mul_f16_e32 v37, 0x36a6, v37
	v_add_f16_e32 v30, v30, v38
	v_sub_f16_e32 v24, v42, v24
	v_add_f16_e32 v50, v66, v50
	v_fmamk_f16 v66, v13, 0x3853, v67
	v_add_f16_e32 v55, v61, v55
	v_fmac_f16_e32 v67, 0xb853, v13
	v_mul_f16_e32 v61, 0xbbad, v41
	v_add_f16_e32 v49, v52, v49
	v_add_f16_e32 v45, v45, v0
	v_fma_f16 v47, v20, 0xb93d, -v47
	v_mul_f16_e32 v52, 0xb08e, v23
	v_mul_f16_e32 v39, 0xb08e, v39
	v_add_f16_e32 v35, v35, v37
	v_add_f16_sdwa v30, v30, v0 dst_sel:DWORD dst_unused:UNUSED_PAD src0_sel:DWORD src1_sel:WORD_1
	v_add_f16_e32 v24, v24, v0
	v_sub_f16_e32 v26, v51, v26
	v_pk_add_f16 v1, v5, v1
	v_add_f16_e32 v55, v67, v55
	v_fmamk_f16 v67, v18, 0x3482, v61
	v_fmac_f16_e32 v61, 0xb482, v18
	v_mul_f16_e32 v54, 0x36a6, v40
	v_add_f16_e32 v45, v47, v45
	v_mul_f16_e32 v47, 0xb93d, v21
	v_mul_f16_e32 v41, 0xb93d, v41
	v_add_f16_e32 v30, v35, v30
	v_add_f16_e32 v28, v28, v39
	;; [unrolled: 1-line block ×3, first 2 shown]
	v_sub_f16_e32 v25, v52, v25
	v_pk_add_f16 v1, v6, v1
	v_add_f16_e32 v43, v61, v55
	v_fmamk_f16 v55, v17, 0x3b47, v54
	v_pk_fma_f16 v46, 0xbbebbb47, v12, v46 op_sel:[0,0,1] op_sel_hi:[1,1,0] neg_lo:[0,1,0] neg_hi:[0,1,0]
	v_mul_f16_e32 v38, 0xbbad, v22
	v_mul_f16_e32 v40, 0xbbad, v40
	v_add_f16_e32 v5, v28, v30
	v_add_f16_e32 v28, v29, v41
	;; [unrolled: 1-line block ×3, first 2 shown]
	v_sub_f16_e32 v25, v47, v27
	v_pk_add_f16 v1, v2, v1
	v_add_f16_e32 v43, v55, v43
	v_fmac_f16_e32 v56, 0xb853, v18
	v_pk_fma_f16 v55, 0x3482ba0c, v14, v59 op_sel:[0,0,1] op_sel_hi:[1,1,0] neg_lo:[0,1,0] neg_hi:[0,1,0]
	v_add_f16_e32 v5, v28, v5
	v_add_f16_e32 v27, v36, v40
	v_add_f16_e32 v24, v25, v24
	v_sub_f16_e32 v2, v38, v33
	v_bfi_b32 v9, 0xffff, v9, v46
	v_pk_add_f16 v1, v3, v1
	v_add_f16_e32 v49, v56, v49
	v_pk_fma_f16 v56, 0x3b473482, v13, v64 op_sel:[0,0,1] op_sel_hi:[1,1,0] neg_lo:[0,1,0] neg_hi:[0,1,0]
	v_add_f16_e32 v5, v27, v5
	v_mov_b32_e32 v25, 2
	v_add_f16_e32 v2, v2, v24
	v_pk_add_f16 v3, v9, v0 op_sel:[0,1] op_sel_hi:[1,0]
	v_bfi_b32 v9, 0xffff, v63, v55
	v_pk_add_f16 v1, v11, v1
	v_pk_mul_f16 v11, 0xbbad, v19 op_sel_hi:[0,1]
	v_pk_mul_f16 v37, 0xb08e3abb, v21
	v_alignbit_b32 v39, s0, v0, 16
	v_lshlrev_b32_sdwa v24, v25, v34 dst_sel:DWORD dst_unused:UNUSED_PAD src0_sel:DWORD src1_sel:WORD_0
	v_pack_b32_f16 v2, v2, v5
	v_pk_add_f16 v3, v9, v3
	v_bfi_b32 v5, 0xffff, v62, v56
	v_pk_fma_f16 v9, 0xb482, v12, v11 op_sel:[0,0,1] op_sel_hi:[0,1,0] neg_lo:[0,1,0] neg_hi:[0,1,0]
	v_pk_mul_f16 v19, 0x3abb, v20 op_sel_hi:[0,1]
	v_pk_fma_f16 v42, 0xb8533beb, v18, v37 op_sel:[0,0,1] op_sel_hi:[1,1,0] neg_lo:[0,1,0] neg_hi:[0,1,0]
	v_pk_fma_f16 v37, 0xb8533beb, v18, v37 op_sel:[0,0,1] op_sel_hi:[1,1,0]
	v_fma_f16 v48, v23, 0xbbad, -v48
	ds_write2_b32 v24, v1, v2 offset1:1
	v_pk_add_f16 v1, v5, v3
	v_pk_add_f16 v3, v9, v39
	v_pk_fma_f16 v5, 0x3853, v14, v19 op_sel:[0,0,1] op_sel_hi:[0,1,0] neg_lo:[0,1,0] neg_hi:[0,1,0]
	v_pk_mul_f16 v20, 0xb93d, v23 op_sel_hi:[0,1]
	v_pk_fma_f16 v11, 0xb482, v12, v11 op_sel:[0,0,1] op_sel_hi:[0,1,0]
	v_alignbit_b32 v9, s0, v9, 16
	v_pk_mul_f16 v35, 0x3abbb93d, v22
	v_bfi_b32 v2, 0xffff, v37, v42
	v_add_f16_e32 v45, v48, v45
	v_add_f16_sdwa v48, v46, v0 dst_sel:DWORD dst_unused:UNUSED_PAD src0_sel:DWORD src1_sel:WORD_1
	v_pk_add_f16 v3, v5, v3
	v_pk_fma_f16 v12, 0xba0c, v13, v20 op_sel:[0,0,1] op_sel_hi:[0,1,0] neg_lo:[0,1,0] neg_hi:[0,1,0]
	v_pk_add_f16 v11, v11, v0 op_sel:[0,1] op_sel_hi:[1,0]
	v_pk_fma_f16 v14, 0x3853, v14, v19 op_sel:[0,0,1] op_sel_hi:[0,1,0]
	v_pk_add_f16 v0, v9, v0
	v_alignbit_b32 v5, s0, v5, 16
	v_pk_fma_f16 v51, 0xba0c3853, v17, v35 op_sel:[0,0,1] op_sel_hi:[1,1,0] neg_lo:[0,1,0] neg_hi:[0,1,0]
	v_pk_add_f16 v1, v2, v1
	v_pk_fma_f16 v2, 0xba0c3853, v17, v35 op_sel:[0,0,1] op_sel_hi:[1,1,0]
	v_pk_mul_f16 v19, 0x36a6, v21 op_sel_hi:[0,1]
	v_pk_add_f16 v11, v14, v11
	v_pk_fma_f16 v13, 0xba0c, v13, v20 op_sel:[0,0,1] op_sel_hi:[0,1,0]
	v_pk_add_f16 v0, v5, v0
	v_alignbit_b32 v5, s0, v12, 16
	v_bfi_b32 v2, 0xffff, v2, v51
	v_pk_add_f16 v3, v12, v3
	v_pk_fma_f16 v9, 0x3b47, v18, v19 op_sel:[0,0,1] op_sel_hi:[0,1,0] neg_lo:[0,1,0] neg_hi:[0,1,0]
	v_pk_mul_f16 v14, 0xb08e, v22 op_sel_hi:[0,1]
	v_add_f16_e32 v50, v66, v50
	v_pk_mul_f16 v26, 0xba0c3853, v17
	v_mul_f16_e32 v52, 0x3b47, v17
	v_pk_add_f16 v11, v13, v11
	v_pk_fma_f16 v13, 0x3b47, v18, v19 op_sel:[0,0,1] op_sel_hi:[0,1,0]
	v_pk_add_f16 v0, v5, v0
	v_lshlrev_b32_e32 v5, 16, v44
	v_add_f16_e32 v48, v55, v48
	v_fma_f16 v58, v21, 0xb08e, -v58
	v_pk_add_f16 v1, v2, v1
	v_pk_add_f16 v2, v9, v3
	v_pk_fma_f16 v3, 0xbbeb, v17, v14 op_sel:[0,0,1] op_sel_hi:[0,1,0] neg_lo:[0,1,0] neg_hi:[0,1,0]
	v_alignbit_b32 v9, s0, v9, 16
	v_pk_add_f16 v11, v13, v11
	v_pack_b32_f16 v12, v67, v35
	v_bfi_b32 v13, 0xffff, v50, v26
	v_pk_add_f16 v18, v54, v52 neg_lo:[0,1] neg_hi:[0,1]
	v_pk_add_f16 v5, v37, v5
	v_add_f16_e32 v48, v56, v48
	v_fmac_f16_e32 v60, 0xba0c, v17
	v_add_f16_e32 v45, v58, v45
	v_fma_f16 v6, v22, 0x3abb, -v57
	v_pk_fma_f16 v14, 0xbbeb, v17, v14 op_sel:[0,0,1] op_sel_hi:[0,1,0]
	v_pk_add_f16 v0, v9, v0
	v_alignbit_b32 v9, s0, v3, 16
	v_fmamk_f16 v66, v22, 0x36a6, v65
	v_pk_add_f16 v12, v12, v13
	v_bfi_b32 v5, 0xffff, v18, v5
	v_add_f16_e32 v48, v42, v48
	v_add_f16_e32 v49, v60, v49
	;; [unrolled: 1-line block ×3, first 2 shown]
	v_pk_add_f16 v2, v3, v2
	v_pk_add_f16 v3, v14, v11
	;; [unrolled: 1-line block ×3, first 2 shown]
	v_add_f16_e32 v8, v66, v8
	v_pk_add_f16 v5, v5, v12
	v_add_f16_e32 v48, v51, v48
	v_alignbit_b32 v13, v49, v1, 16
	v_pack_b32_f16 v1, v6, v1
	v_pack_b32_f16 v6, v7, v43
	v_alignbit_b32 v2, v2, v3, 16
	v_pack_b32_f16 v0, v0, v3
	v_alignbit_b32 v3, v53, v5, 16
	v_pack_b32_f16 v5, v8, v5
	v_pack_b32_f16 v7, v10, v48
	v_perm_b32 v8, v16, v15, 0x5040100
	ds_write2_b32 v24, v1, v13 offset0:2 offset1:3
	ds_write_b32 v24, v6 offset:16
	ds_write2_b32 v24, v0, v2 offset0:5 offset1:6
	ds_write2_b32 v24, v5, v3 offset0:7 offset1:8
	;; [unrolled: 1-line block ×3, first 2 shown]
.LBB0_7:
	s_or_b32 exec_lo, exec_lo, s4
	v_and_b32_e32 v0, 0xff, v32
	v_add_co_u32 v17, null, 0xc6, v32
	v_add_co_u32 v18, null, 0x18c, v32
	v_mul_lo_u16 v0, 0x75, v0
	v_add_nc_u16 v19, v32, 0x252
	v_mov_b32_e32 v20, 2
	s_load_dwordx4 s[4:7], s[0:1], 0x0
	s_waitcnt lgkmcnt(0)
	v_lshrrev_b16 v0, 8, v0
	s_barrier
	buffer_gl0_inv
	v_lshlrev_b32_sdwa v33, v20, v32 dst_sel:DWORD dst_unused:UNUSED_PAD src0_sel:DWORD src1_sel:WORD_0
	v_mov_b32_e32 v30, 22
	v_sub_nc_u16 v1, v32, v0
	v_cmp_gt_u16_e64 s0, 0x42, v32
	v_add_nc_u32_e32 v8, 0x1200, v33
	v_add_nc_u32_e32 v10, 0x600, v33
	v_lshrrev_b16 v1, 1, v1
	v_add_nc_u32_e32 v12, 0x1800, v33
	v_add_nc_u32_e32 v35, 0xa00, v33
	;; [unrolled: 1-line block ×3, first 2 shown]
	v_and_b32_e32 v1, 0x7f, v1
	v_add_nc_u16 v0, v1, v0
	v_mov_b32_e32 v1, 0xba2f
	v_lshrrev_b16 v14, 3, v0
	v_mul_u32_u24_sdwa v7, v17, v1 dst_sel:DWORD dst_unused:UNUSED_PAD src0_sel:WORD_0 src1_sel:DWORD
	v_add_co_u32 v0, null, 0x318, v32
	v_mul_u32_u24_sdwa v6, v18, v1 dst_sel:DWORD dst_unused:UNUSED_PAD src0_sel:WORD_0 src1_sel:DWORD
	v_mul_lo_u16 v2, v14, 11
	v_mul_u32_u24_sdwa v5, v19, v1 dst_sel:DWORD dst_unused:UNUSED_PAD src0_sel:WORD_0 src1_sel:DWORD
	v_lshrrev_b32_e32 v21, 19, v7
	v_mul_u32_u24_sdwa v1, v0, v1 dst_sel:DWORD dst_unused:UNUSED_PAD src0_sel:WORD_0 src1_sel:DWORD
	v_lshrrev_b32_e32 v22, 19, v6
	v_sub_nc_u16 v2, v32, v2
	v_lshrrev_b32_e32 v23, 19, v5
	v_mul_lo_u16 v3, v21, 11
	v_lshrrev_b32_e32 v24, 19, v1
	v_mul_lo_u16 v1, v22, 11
	v_and_b32_e32 v25, 0xff, v2
	v_mul_lo_u16 v2, v23, 11
	v_sub_nc_u16 v26, v17, v3
	v_mul_lo_u16 v3, v24, 11
	v_sub_nc_u16 v27, v18, v1
	v_lshlrev_b32_e32 v1, 2, v25
	v_sub_nc_u16 v28, v19, v2
	v_lshlrev_b32_sdwa v2, v20, v26 dst_sel:DWORD dst_unused:UNUSED_PAD src0_sel:DWORD src1_sel:WORD_0
	v_sub_nc_u16 v29, v0, v3
	v_lshlrev_b32_sdwa v0, v20, v27 dst_sel:DWORD dst_unused:UNUSED_PAD src0_sel:DWORD src1_sel:WORD_0
	global_load_dword v39, v1, s[2:3]
	v_mad_u16 v21, v21, 22, v26
	global_load_dword v40, v2, s[2:3]
	v_lshlrev_b32_sdwa v1, v20, v28 dst_sel:DWORD dst_unused:UNUSED_PAD src0_sel:DWORD src1_sel:WORD_0
	v_lshlrev_b32_sdwa v2, v20, v29 dst_sel:DWORD dst_unused:UNUSED_PAD src0_sel:DWORD src1_sel:WORD_0
	s_clause 0x2
	global_load_dword v41, v0, s[2:3]
	global_load_dword v38, v1, s[2:3]
	;; [unrolled: 1-line block ×3, first 2 shown]
	v_add_nc_u32_e32 v2, 0xc00, v33
	ds_read2_b32 v[0:1], v33 offset1:198
	ds_read2_b32 v[2:3], v2 offset0:24 offset1:222
	ds_read2_b32 v[8:9], v8 offset0:36 offset1:234
	;; [unrolled: 1-line block ×4, first 2 shown]
	v_mad_u16 v22, v22, 22, v27
	v_mad_u16 v23, v23, 22, v28
	;; [unrolled: 1-line block ×3, first 2 shown]
	v_lshlrev_b32_sdwa v42, v20, v21 dst_sel:DWORD dst_unused:UNUSED_PAD src0_sel:DWORD src1_sel:WORD_0
	v_mul_u32_u24_sdwa v14, v14, v30 dst_sel:DWORD dst_unused:UNUSED_PAD src0_sel:WORD_0 src1_sel:DWORD
	v_lshlrev_b32_sdwa v43, v20, v22 dst_sel:DWORD dst_unused:UNUSED_PAD src0_sel:DWORD src1_sel:WORD_0
	v_lshlrev_b32_sdwa v44, v20, v23 dst_sel:DWORD dst_unused:UNUSED_PAD src0_sel:DWORD src1_sel:WORD_0
	;; [unrolled: 1-line block ×3, first 2 shown]
	s_waitcnt vmcnt(0) lgkmcnt(0)
	v_add_lshl_u32 v46, v14, v25, 2
	s_barrier
	buffer_gl0_inv
	v_lshrrev_b32_e32 v26, 16, v0
	v_lshrrev_b32_e32 v21, 16, v3
	v_lshrrev_b32_e32 v22, 16, v8
	v_lshrrev_b32_e32 v23, 16, v9
	v_lshrrev_b32_e32 v24, 16, v12
	v_lshrrev_b32_e32 v47, 16, v13
	v_lshrrev_b32_e32 v27, 16, v1
	v_lshrrev_b32_e32 v28, 16, v10
	v_lshrrev_b32_e32 v29, 16, v11
	v_lshrrev_b32_e32 v30, 16, v2
	v_mul_f16_sdwa v14, v21, v39 dst_sel:DWORD dst_unused:UNUSED_PAD src0_sel:DWORD src1_sel:WORD_1
	v_mul_f16_sdwa v25, v3, v39 dst_sel:DWORD dst_unused:UNUSED_PAD src0_sel:DWORD src1_sel:WORD_1
	;; [unrolled: 1-line block ×10, first 2 shown]
	v_fma_f16 v3, v3, v39, -v14
	v_fmac_f16_e32 v25, v21, v39
	v_fma_f16 v8, v8, v40, -v48
	v_fmac_f16_e32 v49, v22, v40
	;; [unrolled: 2-line block ×5, first 2 shown]
	v_sub_f16_e32 v3, v0, v3
	v_sub_f16_e32 v14, v26, v25
	;; [unrolled: 1-line block ×10, first 2 shown]
	v_fma_f16 v0, v0, 2.0, -v3
	v_fma_f16 v13, v26, 2.0, -v14
	;; [unrolled: 1-line block ×10, first 2 shown]
	v_pack_b32_f16 v3, v3, v14
	v_pack_b32_f16 v0, v0, v13
	;; [unrolled: 1-line block ×10, first 2 shown]
	ds_write2_b32 v46, v0, v3 offset1:11
	ds_write2_b32 v42, v1, v8 offset1:11
	;; [unrolled: 1-line block ×5, first 2 shown]
	s_waitcnt lgkmcnt(0)
	s_barrier
	buffer_gl0_inv
	ds_read2_b32 v[0:1], v33 offset1:198
	ds_read2_b32 v[9:10], v35 offset0:20 offset1:218
	ds_read2_b32 v[2:3], v36 offset0:40 offset1:238
	ds_read_b32 v21, v33 offset:1584
	ds_read_b32 v25, v33 offset:4224
	ds_read_b32 v22, v33 offset:6864
                                        ; implicit-def: $vgpr26
                                        ; implicit-def: $vgpr27
	s_and_saveexec_b32 s1, s0
	s_cbranch_execz .LBB0_9
; %bb.8:
	ds_read_b32 v23, v33 offset:2376
	ds_read_b32 v15, v33 offset:5016
	;; [unrolled: 1-line block ×3, first 2 shown]
	s_waitcnt lgkmcnt(2)
	v_lshrrev_b32_e32 v24, 16, v23
	s_waitcnt lgkmcnt(1)
	v_lshrrev_b32_e32 v16, 16, v15
	;; [unrolled: 2-line block ×3, first 2 shown]
.LBB0_9:
	s_or_b32 exec_lo, exec_lo, s1
	v_lshrrev_b16 v8, 1, v32
	v_lshrrev_b32_e32 v28, 20, v7
	v_lshrrev_b32_e32 v29, 20, v6
	;; [unrolled: 1-line block ×3, first 2 shown]
	s_waitcnt lgkmcnt(4)
	v_lshrrev_b32_e32 v52, 16, v9
	v_and_b32_e32 v8, 0x7f, v8
	v_mul_lo_u16 v5, v28, 22
	v_mul_lo_u16 v6, v29, 22
	v_mul_lo_u16 v7, v35, 22
	s_waitcnt lgkmcnt(3)
	v_lshrrev_b32_e32 v53, 16, v2
	v_mul_lo_u16 v8, 0xbb, v8
	v_sub_nc_u16 v47, v17, v5
	v_sub_nc_u16 v48, v18, v6
	;; [unrolled: 1-line block ×3, first 2 shown]
	v_lshrrev_b32_e32 v55, 16, v10
	v_lshrrev_b16 v30, 11, v8
	v_lshlrev_b16 v6, 3, v47
	v_lshlrev_b16 v7, 3, v48
	v_mad_u16 v28, 0x42, v28, v47
	v_mad_u16 v29, 0x42, v29, v48
	v_mul_lo_u16 v8, v30, 22
	v_lshrrev_b32_e32 v56, 16, v3
	v_and_b32_e32 v7, 0xffff, v7
	s_waitcnt lgkmcnt(1)
	v_lshrrev_b32_e32 v47, 16, v25
	s_waitcnt lgkmcnt(0)
	v_lshrrev_b32_e32 v58, 16, v22
	v_sub_nc_u16 v5, v32, v8
	v_lshlrev_b16 v8, 3, v36
	v_lshlrev_b32_sdwa v48, v20, v29 dst_sel:DWORD dst_unused:UNUSED_PAD src0_sel:DWORD src1_sel:WORD_0
	v_lshrrev_b32_e32 v51, 16, v0
	v_lshrrev_b32_e32 v54, 16, v1
	v_and_b32_e32 v50, 0xff, v5
	v_and_b32_e32 v5, 0xffff, v6
	v_and_b32_e32 v49, 0xffff, v8
	v_lshrrev_b32_e32 v57, 16, v21
	v_lshlrev_b32_e32 v8, 3, v50
	v_add_co_u32 v5, s1, s2, v5
	v_add_co_ci_u32_e64 v6, null, s3, 0, s1
	v_add_co_u32 v7, s1, s2, v7
	s_clause 0x1
	global_load_dwordx2 v[13:14], v8, s[2:3] offset:44
	global_load_dwordx2 v[11:12], v[5:6], off offset:44
	v_add_co_ci_u32_e64 v8, null, s3, 0, s1
	v_add_co_u32 v5, s1, s2, v49
	v_add_co_ci_u32_e64 v6, null, s3, 0, s1
	s_clause 0x1
	global_load_dwordx2 v[7:8], v[7:8], off offset:44
	global_load_dwordx2 v[5:6], v[5:6], off offset:44
	v_mov_b32_e32 v49, 0x42
	s_waitcnt vmcnt(0)
	s_barrier
	buffer_gl0_inv
	v_mul_u32_u24_sdwa v30, v30, v49 dst_sel:DWORD dst_unused:UNUSED_PAD src0_sel:WORD_0 src1_sel:DWORD
	v_lshlrev_b32_sdwa v49, v20, v28 dst_sel:DWORD dst_unused:UNUSED_PAD src0_sel:DWORD src1_sel:WORD_0
	v_add_lshl_u32 v50, v30, v50, 2
	v_mul_f16_sdwa v20, v52, v13 dst_sel:DWORD dst_unused:UNUSED_PAD src0_sel:DWORD src1_sel:WORD_1
	v_mul_f16_sdwa v28, v9, v13 dst_sel:DWORD dst_unused:UNUSED_PAD src0_sel:DWORD src1_sel:WORD_1
	v_mul_f16_sdwa v29, v53, v14 dst_sel:DWORD dst_unused:UNUSED_PAD src0_sel:DWORD src1_sel:WORD_1
	v_mul_f16_sdwa v30, v2, v14 dst_sel:DWORD dst_unused:UNUSED_PAD src0_sel:DWORD src1_sel:WORD_1
	v_mul_f16_sdwa v59, v55, v11 dst_sel:DWORD dst_unused:UNUSED_PAD src0_sel:DWORD src1_sel:WORD_1
	v_mul_f16_sdwa v60, v10, v11 dst_sel:DWORD dst_unused:UNUSED_PAD src0_sel:DWORD src1_sel:WORD_1
	v_mul_f16_sdwa v61, v56, v12 dst_sel:DWORD dst_unused:UNUSED_PAD src0_sel:DWORD src1_sel:WORD_1
	v_mul_f16_sdwa v62, v3, v12 dst_sel:DWORD dst_unused:UNUSED_PAD src0_sel:DWORD src1_sel:WORD_1
	v_fma_f16 v9, v9, v13, -v20
	v_mul_f16_sdwa v63, v47, v7 dst_sel:DWORD dst_unused:UNUSED_PAD src0_sel:DWORD src1_sel:WORD_1
	v_mul_f16_sdwa v64, v25, v7 dst_sel:DWORD dst_unused:UNUSED_PAD src0_sel:DWORD src1_sel:WORD_1
	;; [unrolled: 1-line block ×8, first 2 shown]
	v_fmac_f16_e32 v28, v52, v13
	v_fma_f16 v2, v2, v14, -v29
	v_fmac_f16_e32 v30, v53, v14
	v_fma_f16 v10, v10, v11, -v59
	;; [unrolled: 2-line block ×7, first 2 shown]
	v_fmac_f16_e32 v70, v27, v6
	v_add_f16_e32 v26, v9, v2
	v_sub_f16_e32 v27, v28, v30
	v_add_f16_e32 v29, v51, v28
	v_add_f16_e32 v28, v28, v30
	;; [unrolled: 1-line block ×7, first 2 shown]
	v_sub_f16_e32 v9, v9, v2
	v_sub_f16_e32 v53, v60, v62
	v_add_f16_e32 v55, v54, v60
	v_sub_f16_e32 v60, v64, v66
	v_add_f16_e32 v61, v57, v64
	v_add_f16_e32 v64, v23, v15
	;; [unrolled: 1-line block ×3, first 2 shown]
	v_sub_f16_e32 v67, v68, v70
	v_add_f16_e32 v69, v24, v68
	v_add_f16_e32 v68, v68, v70
	v_fma_f16 v0, -0.5, v26, v0
	v_fmac_f16_e32 v51, -0.5, v28
	v_add_f16_e32 v47, v1, v10
	v_sub_f16_e32 v10, v10, v3
	v_fmac_f16_e32 v1, -0.5, v52
	v_fmac_f16_e32 v54, -0.5, v56
	v_add_f16_e32 v58, v21, v20
	v_sub_f16_e32 v20, v20, v22
	v_fmac_f16_e32 v21, -0.5, v59
	v_fmac_f16_e32 v57, -0.5, v63
	v_sub_f16_e32 v15, v15, v16
	v_add_f16_e32 v2, v25, v2
	v_add_f16_e32 v30, v29, v30
	;; [unrolled: 1-line block ×3, first 2 shown]
	v_fmac_f16_e32 v23, -0.5, v65
	v_fmac_f16_e32 v24, -0.5, v68
	v_fmamk_f16 v16, v27, 0x3aee, v0
	v_fmac_f16_e32 v0, 0xbaee, v27
	v_fmamk_f16 v27, v9, 0xbaee, v51
	v_fmac_f16_e32 v51, 0x3aee, v9
	v_add_f16_e32 v3, v47, v3
	v_add_f16_e32 v47, v55, v62
	v_fmamk_f16 v9, v53, 0x3aee, v1
	v_fmac_f16_e32 v1, 0xbaee, v53
	v_fmamk_f16 v53, v10, 0xbaee, v54
	v_fmac_f16_e32 v54, 0x3aee, v10
	v_add_f16_e32 v22, v58, v22
	v_add_f16_e32 v52, v61, v66
	v_fmamk_f16 v10, v60, 0x3aee, v21
	v_fmamk_f16 v55, v20, 0xbaee, v57
	v_add_f16_e32 v26, v69, v70
	v_fmac_f16_e32 v21, 0xbaee, v60
	v_fmac_f16_e32 v57, 0x3aee, v20
	v_fmamk_f16 v28, v67, 0x3aee, v23
	v_fmac_f16_e32 v23, 0xbaee, v67
	v_fmamk_f16 v29, v15, 0xbaee, v24
	v_fmac_f16_e32 v24, 0x3aee, v15
	v_pack_b32_f16 v2, v2, v30
	v_pack_b32_f16 v16, v16, v27
	;; [unrolled: 1-line block ×9, first 2 shown]
	ds_write2_b32 v50, v2, v16 offset1:22
	ds_write_b32 v50, v0 offset:176
	ds_write2_b32 v49, v3, v9 offset1:22
	ds_write_b32 v49, v1 offset:176
	;; [unrolled: 2-line block ×3, first 2 shown]
	s_and_saveexec_b32 s1, s0
	s_cbranch_execz .LBB0_11
; %bb.10:
	v_mov_b32_e32 v0, 0xba2f
	v_mov_b32_e32 v1, 2
	v_perm_b32 v2, v26, v25, 0x5040100
	v_perm_b32 v3, v29, v28, 0x5040100
	v_mul_u32_u24_sdwa v0, v19, v0 dst_sel:DWORD dst_unused:UNUSED_PAD src0_sel:WORD_0 src1_sel:DWORD
	v_lshrrev_b32_e32 v0, 20, v0
	v_mad_u16 v0, 0x42, v0, v36
	v_lshlrev_b32_sdwa v0, v1, v0 dst_sel:DWORD dst_unused:UNUSED_PAD src0_sel:DWORD src1_sel:WORD_0
	v_perm_b32 v1, v24, v23, 0x5040100
	ds_write2_b32 v0, v2, v3 offset1:22
	ds_write_b32 v0, v1 offset:176
.LBB0_11:
	s_or_b32 exec_lo, exec_lo, s1
	v_add_nc_u32_e32 v2, 0xa00, v33
	v_add_nc_u32_e32 v3, 0x1400, v33
	s_waitcnt lgkmcnt(0)
	s_barrier
	buffer_gl0_inv
	ds_read2_b32 v[0:1], v33 offset1:198
	ds_read2_b32 v[21:22], v2 offset0:20 offset1:218
	ds_read2_b32 v[2:3], v3 offset0:40 offset1:238
	ds_read_b32 v27, v33 offset:1584
	ds_read_b32 v54, v33 offset:4224
	;; [unrolled: 1-line block ×3, first 2 shown]
	s_and_saveexec_b32 s1, s0
	s_cbranch_execz .LBB0_13
; %bb.12:
	ds_read_b32 v25, v33 offset:2376
	ds_read_b32 v28, v33 offset:5016
	;; [unrolled: 1-line block ×3, first 2 shown]
	s_waitcnt lgkmcnt(2)
	v_lshrrev_b32_e32 v26, 16, v25
	s_waitcnt lgkmcnt(1)
	v_lshrrev_b32_e32 v29, 16, v28
	s_waitcnt lgkmcnt(0)
	v_lshrrev_b32_e32 v24, 16, v23
.LBB0_13:
	s_or_b32 exec_lo, exec_lo, s1
	v_mov_b32_e32 v10, 0xf83f
	v_and_b32_e32 v9, 0xff, v32
	v_mov_b32_e32 v61, 0xc6
	s_waitcnt lgkmcnt(4)
	v_lshrrev_b32_e32 v59, 16, v21
	s_waitcnt lgkmcnt(3)
	v_lshrrev_b32_e32 v60, 16, v2
	v_mul_u32_u24_sdwa v15, v17, v10 dst_sel:DWORD dst_unused:UNUSED_PAD src0_sel:WORD_0 src1_sel:DWORD
	v_mul_lo_u16 v9, 0xf9, v9
	v_mul_u32_u24_sdwa v16, v18, v10 dst_sel:DWORD dst_unused:UNUSED_PAD src0_sel:WORD_0 src1_sel:DWORD
	v_mul_u32_u24_sdwa v10, v19, v10 dst_sel:DWORD dst_unused:UNUSED_PAD src0_sel:WORD_0 src1_sel:DWORD
	v_lshrrev_b32_e32 v62, 16, v22
	v_lshrrev_b32_e32 v52, 22, v15
	v_lshrrev_b16 v51, 14, v9
	v_lshrrev_b32_e32 v53, 22, v16
	v_lshrrev_b32_e32 v9, 22, v10
	;; [unrolled: 1-line block ×3, first 2 shown]
	v_mul_lo_u16 v15, 0x42, v52
	v_mul_lo_u16 v10, 0x42, v51
	;; [unrolled: 1-line block ×4, first 2 shown]
	v_mul_u32_u24_sdwa v51, v51, v61 dst_sel:DWORD dst_unused:UNUSED_PAD src0_sel:WORD_0 src1_sel:DWORD
	v_sub_nc_u16 v56, v17, v15
	v_sub_nc_u16 v10, v32, v10
	;; [unrolled: 1-line block ×4, first 2 shown]
	s_waitcnt lgkmcnt(0)
	v_lshrrev_b32_e32 v61, 16, v30
	v_lshlrev_b16 v9, 3, v56
	v_and_b32_e32 v58, 0xff, v10
	v_lshlrev_b16 v10, 3, v57
	v_lshlrev_b16 v15, 3, v47
	v_mad_u16 v52, 0xc6, v52, v56
	v_and_b32_e32 v9, 0xffff, v9
	v_lshlrev_b32_e32 v16, 3, v58
	v_and_b32_e32 v17, 0xffff, v10
	v_and_b32_e32 v55, 0xffff, v15
	v_mad_u16 v56, 0xc6, v53, v57
	v_add_co_u32 v9, s1, s2, v9
	v_add_co_ci_u32_e64 v10, null, s3, 0, s1
	v_add_co_u32 v15, s1, s2, v17
	s_clause 0x1
	global_load_dwordx2 v[19:20], v16, s[2:3] offset:220
	global_load_dwordx2 v[17:18], v[9:10], off offset:220
	v_add_co_ci_u32_e64 v16, null, s3, 0, s1
	v_add_co_u32 v9, s1, s2, v55
	v_add_co_ci_u32_e64 v10, null, s3, 0, s1
	s_clause 0x1
	global_load_dwordx2 v[15:16], v[15:16], off offset:220
	global_load_dwordx2 v[9:10], v[9:10], off offset:220
	v_mov_b32_e32 v55, 2
	v_add_lshl_u32 v53, v51, v58, 2
	v_lshrrev_b32_e32 v57, 16, v54
	v_lshrrev_b32_e32 v63, 16, v0
	;; [unrolled: 1-line block ×3, first 2 shown]
	v_lshlrev_b32_sdwa v51, v55, v56 dst_sel:DWORD dst_unused:UNUSED_PAD src0_sel:DWORD src1_sel:WORD_0
	v_lshrrev_b32_e32 v66, 16, v27
	v_lshlrev_b32_sdwa v52, v55, v52 dst_sel:DWORD dst_unused:UNUSED_PAD src0_sel:DWORD src1_sel:WORD_0
	s_waitcnt vmcnt(0)
	s_barrier
	buffer_gl0_inv
	v_mul_f16_sdwa v56, v59, v19 dst_sel:DWORD dst_unused:UNUSED_PAD src0_sel:DWORD src1_sel:WORD_1
	v_mul_f16_sdwa v58, v21, v19 dst_sel:DWORD dst_unused:UNUSED_PAD src0_sel:DWORD src1_sel:WORD_1
	;; [unrolled: 1-line block ×5, first 2 shown]
	v_fma_f16 v56, v21, v19, -v56
	v_fmac_f16_e32 v58, v59, v19
	v_fma_f16 v59, v2, v20, -v67
	v_fmac_f16_e32 v68, v60, v20
	v_mul_f16_sdwa v60, v62, v17 dst_sel:DWORD dst_unused:UNUSED_PAD src0_sel:DWORD src1_sel:WORD_1
	v_mul_f16_sdwa v67, v22, v17 dst_sel:DWORD dst_unused:UNUSED_PAD src0_sel:DWORD src1_sel:WORD_1
	;; [unrolled: 1-line block ×11, first 2 shown]
	v_fma_f16 v60, v22, v17, -v60
	v_fmac_f16_e32 v67, v62, v17
	v_fma_f16 v62, v3, v18, -v69
	v_fmac_f16_e32 v70, v65, v18
	v_fmac_f16_e32 v72, v57, v15
	;; [unrolled: 1-line block ×3, first 2 shown]
	v_add_f16_e32 v24, v56, v59
	v_add_f16_e32 v57, v58, v68
	v_fma_f16 v54, v54, v15, -v71
	v_fma_f16 v30, v30, v16, -v73
	v_fmac_f16_e32 v74, v61, v16
	v_fma_f16 v3, v23, v10, -v76
	v_add_f16_e32 v23, v0, v56
	v_fma_f16 v22, v28, v9, -v75
	v_fmac_f16_e32 v21, v29, v9
	v_add_f16_e32 v29, v63, v58
	v_sub_f16_e32 v28, v58, v68
	v_sub_f16_e32 v56, v56, v59
	v_fma_f16 v0, -0.5, v24, v0
	v_fmac_f16_e32 v63, -0.5, v57
	v_add_f16_e32 v57, v60, v62
	v_add_f16_e32 v61, v67, v70
	;; [unrolled: 1-line block ×3, first 2 shown]
	v_sub_f16_e32 v58, v67, v70
	v_add_f16_e32 v59, v64, v67
	v_add_f16_e32 v67, v54, v30
	;; [unrolled: 1-line block ×5, first 2 shown]
	v_sub_f16_e32 v65, v60, v62
	v_add_f16_e32 v60, v27, v54
	v_sub_f16_e32 v68, v72, v74
	v_add_f16_e32 v69, v66, v72
	v_add_f16_e32 v72, v22, v3
	;; [unrolled: 1-line block ×3, first 2 shown]
	v_fmamk_f16 v77, v28, 0x3aee, v0
	v_fmac_f16_e32 v0, 0xbaee, v28
	v_fmamk_f16 v28, v56, 0xbaee, v63
	v_fmac_f16_e32 v1, -0.5, v57
	v_fmac_f16_e32 v64, -0.5, v61
	v_sub_f16_e32 v54, v54, v30
	v_fmac_f16_e32 v27, -0.5, v67
	v_fmac_f16_e32 v66, -0.5, v71
	v_sub_f16_e32 v73, v21, v2
	v_sub_f16_e32 v76, v22, v3
	v_fmac_f16_e32 v63, 0x3aee, v56
	v_add_f16_e32 v56, v59, v70
	v_add_f16_e32 v30, v60, v30
	v_fma_f16 v59, -0.5, v72, v25
	v_fma_f16 v60, -0.5, v75, v26
	v_add_f16_e32 v29, v29, v62
	v_pack_b32_f16 v23, v23, v24
	v_fmamk_f16 v24, v58, 0x3aee, v1
	v_fmac_f16_e32 v1, 0xbaee, v58
	v_fmamk_f16 v58, v65, 0xbaee, v64
	v_pack_b32_f16 v28, v77, v28
	v_fmac_f16_e32 v64, 0x3aee, v65
	v_add_f16_e32 v57, v69, v74
	v_fmamk_f16 v65, v68, 0x3aee, v27
	v_fmamk_f16 v67, v54, 0xbaee, v66
	v_fmac_f16_e32 v27, 0xbaee, v68
	v_fmac_f16_e32 v66, 0x3aee, v54
	v_fmamk_f16 v61, v73, 0x3aee, v59
	v_fmac_f16_e32 v59, 0xbaee, v73
	v_fmamk_f16 v62, v76, 0xbaee, v60
	v_fmac_f16_e32 v60, 0x3aee, v76
	v_pack_b32_f16 v0, v0, v63
	v_pack_b32_f16 v29, v29, v56
	ds_write2_b32 v53, v23, v28 offset1:66
	v_pack_b32_f16 v23, v24, v58
	v_pack_b32_f16 v1, v1, v64
	;; [unrolled: 1-line block ×5, first 2 shown]
	ds_write_b32 v53, v0 offset:528
	ds_write2_b32 v52, v29, v23 offset1:66
	ds_write_b32 v52, v1 offset:528
	ds_write2_b32 v51, v30, v24 offset1:66
	ds_write_b32 v51, v27 offset:528
	s_and_saveexec_b32 s1, s0
	s_cbranch_execz .LBB0_15
; %bb.14:
	v_add_f16_e32 v0, v26, v21
	v_add_f16_e32 v1, v25, v22
	v_lshlrev_b32_sdwa v21, v55, v47 dst_sel:DWORD dst_unused:UNUSED_PAD src0_sel:DWORD src1_sel:WORD_0
	v_add_f16_e32 v0, v0, v2
	v_add_f16_e32 v1, v1, v3
	v_perm_b32 v2, v62, v61, 0x5040100
	v_add_nc_u32_e32 v3, 0x1a00, v21
	v_pack_b32_f16 v0, v1, v0
	v_perm_b32 v1, v60, v59, 0x5040100
	ds_write2_b32 v3, v0, v2 offset0:118 offset1:184
	ds_write_b32 v21, v1 offset:7656
.LBB0_15:
	s_or_b32 exec_lo, exec_lo, s1
	v_lshlrev_b32_e32 v54, 4, v32
	s_waitcnt lgkmcnt(0)
	s_barrier
	buffer_gl0_inv
	v_add_nc_u32_e32 v73, 0x600, v33
	global_load_dwordx4 v[0:3], v54, s[2:3] offset:748
	v_add_nc_u32_e32 v74, 0xc00, v33
	v_add_nc_u32_e32 v75, 0x1200, v33
	;; [unrolled: 1-line block ×3, first 2 shown]
	ds_read2_b32 v[21:22], v33 offset1:198
	ds_read2_b32 v[23:24], v73 offset0:12 offset1:210
	ds_read2_b32 v[25:26], v74 offset0:24 offset1:222
	;; [unrolled: 1-line block ×4, first 2 shown]
	v_mul_i32_i24_e32 v56, -12, v32
	v_add_co_u32 v54, s1, s2, v54
	v_mul_hi_i32_i24_e32 v55, -12, v32
	v_add_co_ci_u32_e64 v57, null, s3, 0, s1
	v_add_co_u32 v58, s1, v54, v56
	s_waitcnt vmcnt(0) lgkmcnt(0)
	v_add_co_ci_u32_e64 v63, s1, v57, v55, s1
	v_add_co_u32 v54, s1, 0x800, v58
	s_barrier
	v_add_co_ci_u32_e64 v55, s1, 0, v63, s1
	v_lshrrev_b32_e32 v66, 16, v23
	v_lshrrev_b32_e32 v67, 16, v25
	;; [unrolled: 1-line block ×10, first 2 shown]
	v_add_co_u32 v56, s1, 0x1000, v58
	v_add_co_ci_u32_e64 v57, s1, 0, v63, s1
	buffer_gl0_inv
	v_mul_f16_sdwa v78, v66, v0 dst_sel:DWORD dst_unused:UNUSED_PAD src0_sel:DWORD src1_sel:WORD_1
	v_mul_f16_sdwa v79, v23, v0 dst_sel:DWORD dst_unused:UNUSED_PAD src0_sel:DWORD src1_sel:WORD_1
	;; [unrolled: 1-line block ×16, first 2 shown]
	v_fma_f16 v23, v23, v0, -v78
	v_fmac_f16_e32 v79, v66, v0
	v_fma_f16 v25, v25, v1, -v80
	v_fmac_f16_e32 v81, v67, v1
	;; [unrolled: 2-line block ×8, first 2 shown]
	v_add_f16_e32 v66, v21, v23
	v_add_f16_e32 v67, v25, v27
	v_sub_f16_e32 v70, v23, v25
	v_sub_f16_e32 v71, v29, v27
	v_add_f16_e32 v72, v23, v29
	v_add_f16_e32 v80, v64, v79
	;; [unrolled: 1-line block ×4, first 2 shown]
	v_sub_f16_e32 v68, v79, v85
	v_sub_f16_e32 v77, v25, v23
	;; [unrolled: 1-line block ×7, first 2 shown]
	v_add_f16_e32 v94, v22, v24
	v_add_f16_e32 v95, v26, v28
	;; [unrolled: 1-line block ×6, first 2 shown]
	v_sub_f16_e32 v23, v23, v29
	v_sub_f16_e32 v84, v25, v27
	v_add_f16_e32 v25, v66, v25
	v_fma_f16 v66, -0.5, v67, v21
	v_add_f16_e32 v67, v70, v71
	v_fma_f16 v21, -0.5, v72, v21
	;; [unrolled: 2-line block ×3, first 2 shown]
	v_sub_f16_e32 v69, v81, v83
	v_fmac_f16_e32 v64, -0.5, v90
	v_sub_f16_e32 v96, v87, v93
	v_sub_f16_e32 v97, v89, v91
	;; [unrolled: 1-line block ×6, first 2 shown]
	v_add_f16_e32 v70, v77, v78
	v_add_f16_e32 v77, v86, v88
	;; [unrolled: 1-line block ×4, first 2 shown]
	v_fma_f16 v79, -0.5, v95, v22
	v_fmac_f16_e32 v22, -0.5, v100
	v_add_f16_e32 v82, v103, v89
	v_fma_f16 v86, -0.5, v104, v65
	v_fmac_f16_e32 v65, -0.5, v108
	v_add_f16_e32 v25, v25, v27
	v_fmamk_f16 v27, v68, 0x3b9c, v66
	v_add_f16_e32 v71, v71, v83
	v_fmamk_f16 v83, v23, 0xbb9c, v72
	v_sub_f16_e32 v106, v87, v89
	v_sub_f16_e32 v87, v89, v87
	v_fmamk_f16 v89, v69, 0xbb9c, v21
	v_fmac_f16_e32 v21, 0x3b9c, v69
	v_fmamk_f16 v90, v84, 0x3b9c, v64
	v_fmac_f16_e32 v64, 0xbb9c, v84
	v_fmac_f16_e32 v66, 0xbb9c, v68
	;; [unrolled: 1-line block ×3, first 2 shown]
	v_sub_f16_e32 v99, v30, v28
	v_sub_f16_e32 v102, v28, v30
	;; [unrolled: 1-line block ×4, first 2 shown]
	v_add_f16_e32 v26, v26, v28
	v_fmamk_f16 v28, v96, 0x3b9c, v79
	v_fmamk_f16 v92, v97, 0xbb9c, v22
	v_add_f16_e32 v82, v82, v91
	v_fmamk_f16 v91, v24, 0xbb9c, v86
	v_fmamk_f16 v94, v105, 0x3b9c, v65
	v_fmac_f16_e32 v79, 0xbb9c, v96
	v_fmac_f16_e32 v22, 0x3b9c, v97
	v_fmac_f16_e32 v86, 0x3b9c, v24
	v_fmac_f16_e32 v65, 0xbb9c, v105
	v_fmac_f16_e32 v27, 0x38b4, v69
	v_fmac_f16_e32 v83, 0xb8b4, v84
	v_fmac_f16_e32 v89, 0x38b4, v68
	v_fmac_f16_e32 v21, 0xb8b4, v68
	v_fmac_f16_e32 v90, 0xb8b4, v23
	v_fmac_f16_e32 v64, 0x38b4, v23
	v_fmac_f16_e32 v66, 0xb8b4, v69
	v_fmac_f16_e32 v72, 0x38b4, v84
	v_add_f16_e32 v80, v98, v99
	v_add_f16_e32 v81, v101, v102
	;; [unrolled: 1-line block ×4, first 2 shown]
	v_fmac_f16_e32 v28, 0x38b4, v97
	v_fmac_f16_e32 v92, 0x38b4, v96
	;; [unrolled: 1-line block ×8, first 2 shown]
	v_add_f16_e32 v25, v25, v29
	v_add_f16_e32 v29, v71, v85
	v_fmac_f16_e32 v27, 0x34f2, v67
	v_fmac_f16_e32 v83, 0x34f2, v77
	v_add_f16_e32 v23, v26, v30
	v_add_f16_e32 v26, v82, v93
	v_fmac_f16_e32 v89, 0x34f2, v70
	v_fmac_f16_e32 v21, 0x34f2, v70
	;; [unrolled: 1-line block ×14, first 2 shown]
	v_pack_b32_f16 v24, v25, v29
	v_pack_b32_f16 v25, v27, v83
	;; [unrolled: 1-line block ×10, first 2 shown]
	ds_write2_b32 v33, v24, v25 offset1:198
	ds_write2_b32 v73, v26, v21 offset0:12 offset1:210
	ds_write2_b32 v74, v27, v23 offset0:24 offset1:222
	;; [unrolled: 1-line block ×4, first 2 shown]
	v_add_co_u32 v21, s1, 0x1800, v58
	v_add_co_ci_u32_e64 v22, s1, 0, v63, s1
	s_waitcnt lgkmcnt(0)
	s_barrier
	buffer_gl0_inv
	s_clause 0x4
	global_load_dword v54, v[54:55], off offset:1868
	global_load_dword v58, v[56:57], off offset:612
	;; [unrolled: 1-line block ×5, first 2 shown]
	ds_read2_b32 v[70:71], v33 offset1:198
	ds_read2_b32 v[23:24], v74 offset0:24 offset1:222
	ds_read2_b32 v[21:22], v75 offset0:36 offset1:234
	;; [unrolled: 1-line block ×4, first 2 shown]
	s_waitcnt lgkmcnt(4)
	v_lshrrev_b32_e32 v27, 16, v70
	s_waitcnt lgkmcnt(3)
	v_lshrrev_b32_e32 v28, 16, v24
	;; [unrolled: 2-line block ×3, first 2 shown]
	v_lshrrev_b32_e32 v63, 16, v22
	s_waitcnt lgkmcnt(0)
	v_lshrrev_b32_e32 v64, 16, v25
	v_lshrrev_b32_e32 v65, 16, v26
	;; [unrolled: 1-line block ×6, first 2 shown]
	s_waitcnt vmcnt(3)
	v_mul_f16_sdwa v72, v30, v58 dst_sel:DWORD dst_unused:UNUSED_PAD src0_sel:DWORD src1_sel:WORD_1
	v_mul_f16_sdwa v80, v21, v58 dst_sel:DWORD dst_unused:UNUSED_PAD src0_sel:DWORD src1_sel:WORD_1
	;; [unrolled: 1-line block ×4, first 2 shown]
	s_waitcnt vmcnt(2)
	v_mul_f16_sdwa v81, v63, v56 dst_sel:DWORD dst_unused:UNUSED_PAD src0_sel:DWORD src1_sel:WORD_1
	v_mul_f16_sdwa v82, v22, v56 dst_sel:DWORD dst_unused:UNUSED_PAD src0_sel:DWORD src1_sel:WORD_1
	s_waitcnt vmcnt(1)
	v_mul_f16_sdwa v83, v64, v55 dst_sel:DWORD dst_unused:UNUSED_PAD src0_sel:DWORD src1_sel:WORD_1
	v_mul_f16_sdwa v84, v25, v55 dst_sel:DWORD dst_unused:UNUSED_PAD src0_sel:DWORD src1_sel:WORD_1
	;; [unrolled: 3-line block ×3, first 2 shown]
	v_fma_f16 v24, v24, v54, -v66
	v_fmac_f16_e32 v68, v28, v54
	v_fma_f16 v21, v21, v58, -v72
	v_fmac_f16_e32 v80, v30, v58
	;; [unrolled: 2-line block ×5, first 2 shown]
	v_sub_f16_e32 v22, v70, v24
	v_sub_f16_e32 v68, v27, v68
	;; [unrolled: 1-line block ×10, first 2 shown]
	v_fma_f16 v21, v70, 2.0, -v22
	v_fma_f16 v70, v27, 2.0, -v68
	;; [unrolled: 1-line block ×10, first 2 shown]
	v_pack_b32_f16 v78, v28, v66
	v_pack_b32_f16 v79, v30, v65
	v_pack_b32_f16 v80, v26, v64
	v_pack_b32_f16 v81, v24, v63
	v_pack_b32_f16 v82, v21, v70
	v_pack_b32_f16 v83, v27, v72
	v_pack_b32_f16 v84, v29, v71
	v_pack_b32_f16 v85, v25, v69
	v_pack_b32_f16 v77, v22, v68
	v_pack_b32_f16 v86, v23, v67
	ds_write2_b32 v75, v78, v79 offset0:36 offset1:234
	ds_write2_b32 v76, v80, v81 offset0:48 offset1:246
	ds_write2_b32 v33, v82, v83 offset1:198
	ds_write2_b32 v73, v84, v85 offset0:12 offset1:210
	ds_write2_b32 v74, v86, v77 offset0:24 offset1:222
	s_waitcnt lgkmcnt(0)
	s_barrier
	buffer_gl0_inv
	s_and_saveexec_b32 s2, vcc_lo
	s_cbranch_execz .LBB0_17
; %bb.16:
	v_add_co_u32 v81, s1, s14, v31
	v_add_co_ci_u32_e64 v82, null, s15, 0, s1
	v_add_nc_u32_e32 v94, 0x800, v31
	v_add_co_u32 v73, s1, 0x1800, v81
	v_add_co_ci_u32_e64 v74, s1, 0, v82, s1
	v_add_nc_u32_e32 v95, 0xe00, v31
	v_add_nc_u32_e32 v96, 0x1300, v31
	v_add_nc_u32_e32 v97, 0x1900, v31
	global_load_dword v83, v[73:74], off offset:1776
	v_add_co_u32 v73, s1, 0x1ef0, v81
	v_add_co_ci_u32_e64 v74, s1, 0, v82, s1
	v_add_co_u32 v75, s1, 0x2000, v81
	v_add_co_ci_u32_e64 v76, s1, 0, v82, s1
	;; [unrolled: 2-line block ×4, first 2 shown]
	s_clause 0x6
	global_load_dword v84, v[73:74], off offset:720
	global_load_dword v85, v[75:76], off offset:1888
	;; [unrolled: 1-line block ×7, first 2 shown]
	v_add_co_u32 v73, s1, 0x3800, v81
	v_add_co_ci_u32_e64 v74, s1, 0, v82, s1
	s_clause 0x2
	global_load_dword v91, v[79:80], off offset:1392
	global_load_dword v92, v[73:74], off offset:64
	;; [unrolled: 1-line block ×3, first 2 shown]
	ds_read_b32 v73, v33
	s_waitcnt lgkmcnt(0)
	v_lshrrev_b32_e32 v74, 16, v73
	s_waitcnt vmcnt(10)
	v_mul_f16_sdwa v75, v74, v83 dst_sel:DWORD dst_unused:UNUSED_PAD src0_sel:DWORD src1_sel:WORD_1
	v_mul_f16_sdwa v76, v73, v83 dst_sel:DWORD dst_unused:UNUSED_PAD src0_sel:DWORD src1_sel:WORD_1
	v_fma_f16 v73, v73, v83, -v75
	v_fmac_f16_e32 v76, v74, v83
	v_add_nc_u32_e32 v83, 0x200, v31
	v_pack_b32_f16 v73, v73, v76
	ds_write_b32 v33, v73
	ds_read2_b32 v[73:74], v83 offset0:52 offset1:232
	ds_read2_b32 v[75:76], v94 offset0:28 offset1:208
	;; [unrolled: 1-line block ×5, first 2 shown]
	s_waitcnt lgkmcnt(4)
	v_lshrrev_b32_e32 v98, 16, v73
	s_waitcnt vmcnt(9)
	v_mul_f16_sdwa v99, v73, v84 dst_sel:DWORD dst_unused:UNUSED_PAD src0_sel:DWORD src1_sel:WORD_1
	v_lshrrev_b32_e32 v100, 16, v74
	s_waitcnt vmcnt(3)
	v_mul_f16_sdwa v101, v74, v90 dst_sel:DWORD dst_unused:UNUSED_PAD src0_sel:DWORD src1_sel:WORD_1
	s_waitcnt lgkmcnt(3)
	v_lshrrev_b32_e32 v102, 16, v75
	v_mul_f16_sdwa v103, v75, v85 dst_sel:DWORD dst_unused:UNUSED_PAD src0_sel:DWORD src1_sel:WORD_1
	v_lshrrev_b32_e32 v104, 16, v76
	v_mul_f16_sdwa v105, v76, v86 dst_sel:DWORD dst_unused:UNUSED_PAD src0_sel:DWORD src1_sel:WORD_1
	s_waitcnt lgkmcnt(2)
	v_lshrrev_b32_e32 v106, 16, v77
	v_mul_f16_sdwa v107, v77, v87 dst_sel:DWORD dst_unused:UNUSED_PAD src0_sel:DWORD src1_sel:WORD_1
	v_lshrrev_b32_e32 v108, 16, v78
	;; [unrolled: 5-line block ×3, first 2 shown]
	s_waitcnt vmcnt(2)
	v_mul_f16_sdwa v113, v80, v91 dst_sel:DWORD dst_unused:UNUSED_PAD src0_sel:DWORD src1_sel:WORD_1
	s_waitcnt lgkmcnt(0)
	v_lshrrev_b32_e32 v114, 16, v81
	s_waitcnt vmcnt(1)
	v_mul_f16_sdwa v115, v81, v92 dst_sel:DWORD dst_unused:UNUSED_PAD src0_sel:DWORD src1_sel:WORD_1
	v_lshrrev_b32_e32 v116, 16, v82
	v_mul_f16_sdwa v118, v98, v84 dst_sel:DWORD dst_unused:UNUSED_PAD src0_sel:DWORD src1_sel:WORD_1
	v_fmac_f16_e32 v99, v98, v84
	v_mul_f16_sdwa v98, v100, v90 dst_sel:DWORD dst_unused:UNUSED_PAD src0_sel:DWORD src1_sel:WORD_1
	v_fmac_f16_e32 v101, v100, v90
	;; [unrolled: 2-line block ×7, first 2 shown]
	v_mul_f16_sdwa v110, v112, v91 dst_sel:DWORD dst_unused:UNUSED_PAD src0_sel:DWORD src1_sel:WORD_1
	s_waitcnt vmcnt(0)
	v_mul_f16_sdwa v117, v82, v93 dst_sel:DWORD dst_unused:UNUSED_PAD src0_sel:DWORD src1_sel:WORD_1
	v_fmac_f16_e32 v113, v112, v91
	v_mul_f16_sdwa v112, v114, v92 dst_sel:DWORD dst_unused:UNUSED_PAD src0_sel:DWORD src1_sel:WORD_1
	v_fmac_f16_e32 v115, v114, v92
	v_mul_f16_sdwa v114, v116, v93 dst_sel:DWORD dst_unused:UNUSED_PAD src0_sel:DWORD src1_sel:WORD_1
	v_fma_f16 v73, v73, v84, -v118
	v_fma_f16 v74, v74, v90, -v98
	v_fma_f16 v75, v75, v85, -v100
	v_fma_f16 v76, v76, v86, -v102
	v_fma_f16 v77, v77, v87, -v104
	v_fma_f16 v78, v78, v88, -v106
	v_fma_f16 v79, v79, v89, -v108
	v_fma_f16 v80, v80, v91, -v110
	v_fmac_f16_e32 v117, v116, v93
	v_fma_f16 v81, v81, v92, -v112
	v_fma_f16 v82, v82, v93, -v114
	v_pack_b32_f16 v73, v73, v99
	v_pack_b32_f16 v74, v74, v101
	;; [unrolled: 1-line block ×10, first 2 shown]
	ds_write2_b32 v83, v73, v74 offset0:52 offset1:232
	ds_write2_b32 v94, v75, v76 offset0:28 offset1:208
	ds_write2_b32 v95, v77, v78 offset0:4 offset1:184
	ds_write2_b32 v96, v79, v80 offset0:44 offset1:224
	ds_write2_b32 v97, v81, v82 offset0:20 offset1:200
.LBB0_17:
	s_or_b32 exec_lo, exec_lo, s2
	s_waitcnt lgkmcnt(0)
	s_barrier
	buffer_gl0_inv
	s_and_saveexec_b32 s1, vcc_lo
	s_cbranch_execz .LBB0_19
; %bb.18:
	v_add_nc_u32_e32 v23, 0x500, v33
	v_add_nc_u32_e32 v24, 0xb00, v33
	;; [unrolled: 1-line block ×3, first 2 shown]
	ds_read2_b32 v[21:22], v33 offset1:180
	ds_read2_b32 v[27:28], v23 offset0:40 offset1:220
	v_add_nc_u32_e32 v23, 0x1600, v33
	ds_read2_b32 v[29:30], v24 offset0:16 offset1:196
	ds_read2_b32 v[25:26], v25 offset0:56 offset1:236
	;; [unrolled: 1-line block ×3, first 2 shown]
	ds_read_b32 v61, v33 offset:7200
	s_waitcnt lgkmcnt(5)
	v_lshrrev_b32_e32 v70, 16, v21
	v_lshrrev_b32_e32 v68, 16, v22
	s_waitcnt lgkmcnt(4)
	v_lshrrev_b32_e32 v72, 16, v27
	v_lshrrev_b32_e32 v66, 16, v28
	s_waitcnt lgkmcnt(3)
	v_lshrrev_b32_e32 v71, 16, v29
	v_lshrrev_b32_e32 v65, 16, v30
	s_waitcnt lgkmcnt(2)
	v_lshrrev_b32_e32 v69, 16, v25
	v_lshrrev_b32_e32 v64, 16, v26
	s_waitcnt lgkmcnt(1)
	v_lshrrev_b32_e32 v67, 16, v23
	v_lshrrev_b32_e32 v63, 16, v24
	s_waitcnt lgkmcnt(0)
	v_lshrrev_b32_e32 v62, 16, v61
.LBB0_19:
	s_or_b32 exec_lo, exec_lo, s1
	v_sub_f16_e32 v95, v68, v62
	v_add_f16_e32 v91, v62, v68
	v_add_f16_e32 v88, v61, v22
	v_sub_f16_e32 v100, v22, v61
	v_sub_f16_e32 v96, v72, v63
	v_mul_f16_e32 v75, 0xb853, v95
	v_mul_f16_e32 v76, 0x3abb, v91
	v_add_f16_e32 v92, v63, v72
	v_add_f16_e32 v89, v24, v27
	v_mul_f16_e32 v77, 0xbb47, v96
	v_fma_f16 v73, v88, 0x3abb, -v75
	v_fmamk_f16 v74, v100, 0xb853, v76
	v_sub_f16_e32 v101, v27, v24
	v_mul_f16_e32 v78, 0x36a6, v92
	v_sub_f16_e32 v97, v66, v67
	v_add_f16_e32 v93, v67, v66
	v_add_f16_e32 v73, v21, v73
	;; [unrolled: 1-line block ×3, first 2 shown]
	v_fma_f16 v80, v89, 0x36a6, -v77
	v_fmamk_f16 v82, v101, 0xbb47, v78
	v_add_f16_e32 v85, v23, v28
	v_sub_f16_e32 v102, v28, v23
	v_mul_f16_e32 v79, 0xbbeb, v97
	v_mul_f16_e32 v81, 0xb08e, v93
	v_sub_f16_e32 v98, v71, v64
	v_add_f16_e32 v94, v64, v71
	v_add_f16_e32 v73, v80, v73
	v_add_f16_e32 v74, v82, v74
	v_fma_f16 v82, v85, 0xb08e, -v79
	v_fmamk_f16 v86, v102, 0xbbeb, v81
	v_add_f16_e32 v80, v26, v29
	v_mul_f16_e32 v83, 0xba0c, v98
	v_sub_f16_e32 v104, v29, v26
	v_mul_f16_e32 v84, 0xb93d, v94
	v_sub_f16_e32 v99, v65, v69
	v_add_f16_e32 v90, v69, v65
	v_add_f16_e32 v73, v82, v73
	;; [unrolled: 1-line block ×3, first 2 shown]
	v_fma_f16 v105, v80, 0xb93d, -v83
	v_fmamk_f16 v106, v104, 0xba0c, v84
	v_add_f16_e32 v82, v25, v30
	v_sub_f16_e32 v103, v30, v25
	v_mul_f16_e32 v86, 0xb482, v99
	v_mul_f16_e32 v87, 0xbbad, v90
	v_add_f16_e32 v73, v105, v73
	v_add_f16_e32 v74, v106, v74
	v_fma_f16 v105, v82, 0xbbad, -v86
	v_fmamk_f16 v106, v103, 0xb482, v87
	s_barrier
	buffer_gl0_inv
	v_add_f16_e32 v73, v105, v73
	v_add_f16_e32 v74, v106, v74
	s_and_saveexec_b32 s1, vcc_lo
	s_cbranch_execz .LBB0_21
; %bb.20:
	v_mul_f16_e32 v105, 0xbb47, v100
	v_mul_f16_e32 v109, 0xba0c, v101
	;; [unrolled: 1-line block ×5, first 2 shown]
	v_fmamk_f16 v110, v91, 0x36a6, v105
	v_fmamk_f16 v114, v92, 0xb93d, v109
	v_fma_f16 v122, v88, 0x36a6, -v119
	v_mul_f16_e32 v117, 0x3beb, v104
	v_fmamk_f16 v118, v93, 0xbbad, v113
	v_add_f16_e32 v110, v70, v110
	v_fma_f16 v125, v89, 0xb93d, -v123
	v_add_f16_e32 v122, v21, v122
	v_mul_f16_e32 v126, 0x3482, v97
	v_fmamk_f16 v121, v94, 0xb08e, v117
	v_add_f16_e32 v110, v114, v110
	v_mul_f16_e32 v130, 0x3beb, v98
	v_add_f16_e32 v122, v125, v122
	v_fma_f16 v125, v85, 0xbbad, -v126
	v_mul_f16_e32 v124, 0x3853, v103
	v_add_f16_e32 v110, v118, v110
	v_mul_f16_e32 v133, 0x3853, v99
	v_mul_f16_e32 v129, 0x3482, v101
	v_add_f16_e32 v122, v125, v122
	v_fma_f16 v125, v80, 0xb08e, -v130
	v_add_f16_e32 v110, v121, v110
	v_mul_f16_e32 v121, 0xbbeb, v100
	v_fmamk_f16 v127, v90, 0x3abb, v124
	v_mul_f16_e32 v135, 0xbbeb, v95
	v_add_f16_e32 v122, v125, v122
	v_fma_f16 v125, v82, 0x3abb, -v133
	v_fmamk_f16 v128, v91, 0xb08e, v121
	v_fmamk_f16 v131, v92, 0xbbad, v129
	v_mul_f16_e32 v132, 0x3b47, v102
	v_add_f16_e32 v110, v127, v110
	v_add_f16_e32 v122, v125, v122
	;; [unrolled: 1-line block ×3, first 2 shown]
	v_fma_f16 v125, v88, 0xb08e, -v135
	v_mul_f16_e32 v127, 0x3482, v96
	v_mul_f16_e32 v134, 0xb853, v104
	v_mul_f16_e32 v138, 0x3b47, v97
	v_add_f16_e32 v128, v131, v128
	v_fmamk_f16 v131, v93, 0x36a6, v132
	v_add_f16_e32 v125, v21, v125
	v_fma_f16 v137, v89, 0xbbad, -v127
	v_mul_f16_e32 v142, 0xb853, v98
	v_mul_f16_e32 v145, 0xba0c, v99
	v_add_f16_e32 v128, v131, v128
	v_fmamk_f16 v131, v94, 0x3abb, v134
	v_add_f16_e32 v125, v137, v125
	v_fma_f16 v137, v85, 0x36a6, -v138
	v_mul_f16_e32 v136, 0xba0c, v100
	v_mul_f16_e32 v147, 0xba0c, v95
	v_add_f16_e32 v128, v131, v128
	v_mul_f16_e32 v131, 0xba0c, v103
	v_add_f16_e32 v125, v137, v125
	v_fma_f16 v137, v80, 0x3abb, -v142
	v_fmamk_f16 v140, v91, 0xb93d, v136
	v_mul_f16_e32 v141, 0x3beb, v101
	v_fmamk_f16 v139, v90, 0xb93d, v131
	v_mul_f16_e32 v107, 0xb853, v100
	v_add_f16_e32 v125, v137, v125
	v_fma_f16 v137, v82, 0xb93d, -v145
	v_add_f16_e32 v140, v70, v140
	v_add_f16_e32 v128, v139, v128
	v_mul_f16_e32 v139, 0x3beb, v96
	v_fmamk_f16 v143, v92, 0xb08e, v141
	v_add_f16_e32 v125, v137, v125
	v_fma_f16 v137, v88, 0xb93d, -v147
	v_mul_f16_e32 v144, 0xb853, v102
	v_mul_f16_e32 v100, 0xb482, v100
	v_fma_f16 v148, v89, 0xb08e, -v139
	v_mul_f16_e32 v149, 0xb853, v97
	v_add_f16_e32 v137, v21, v137
	v_mul_f16_e32 v111, 0xbb47, v101
	v_add_f16_e32 v140, v143, v140
	v_fmamk_f16 v143, v93, 0x3abb, v144
	v_mul_f16_e32 v146, 0xb482, v104
	v_fmamk_f16 v151, v91, 0xbbad, v100
	v_mul_f16_e32 v101, 0x3853, v101
	v_add_f16_e32 v137, v148, v137
	v_fma_f16 v148, v85, 0x3abb, -v149
	v_mul_f16_e32 v152, 0xb482, v98
	v_mul_f16_e32 v115, 0xbbeb, v102
	v_add_f16_e32 v140, v143, v140
	v_fmamk_f16 v143, v94, 0xbbad, v146
	v_add_f16_e32 v151, v70, v151
	v_fmamk_f16 v153, v92, 0x3abb, v101
	v_mul_f16_e32 v102, 0xba0c, v102
	v_add_f16_e32 v137, v148, v137
	v_fma_f16 v148, v80, 0xbbad, -v152
	v_mul_f16_e32 v154, 0x3b47, v99
	v_mul_f16_e32 v114, 0xba0c, v104
	v_add_f16_e32 v140, v143, v140
	v_mul_f16_e32 v143, 0x3b47, v103
	v_add_f16_e32 v151, v153, v151
	v_fmamk_f16 v153, v93, 0xb93d, v102
	v_mul_f16_e32 v104, 0x3b47, v104
	v_add_f16_e32 v137, v148, v137
	v_fma_f16 v148, v82, 0x36a6, -v154
	v_mul_f16_e32 v95, 0xb482, v95
	v_fmamk_f16 v150, v90, 0x36a6, v143
	v_add_f16_e32 v151, v153, v151
	v_fmamk_f16 v153, v94, 0x36a6, v104
	v_add_f16_e32 v137, v148, v137
	v_fma_f16 v148, v88, 0xbbad, -v95
	v_mul_f16_e32 v96, 0x3853, v96
	v_add_f16_e32 v140, v150, v140
	v_add_f16_e32 v150, v153, v151
	v_fma_f16 v100, v91, 0xbbad, -v100
	v_add_f16_e32 v148, v21, v148
	v_fma_f16 v151, v89, 0x3abb, -v96
	v_mul_f16_e32 v97, 0xba0c, v97
	v_fmac_f16_e32 v95, 0xbbad, v88
	v_add_f16_e32 v100, v70, v100
	v_fma_f16 v101, v92, 0x3abb, -v101
	v_add_f16_e32 v148, v151, v148
	v_fma_f16 v151, v85, 0xb93d, -v97
	v_mul_f16_e32 v98, 0x3b47, v98
	v_add_f16_e32 v95, v21, v95
	v_fmac_f16_e32 v96, 0x3abb, v89
	v_add_f16_e32 v100, v101, v100
	v_fma_f16 v101, v93, 0xb93d, -v102
	v_add_f16_e32 v102, v151, v148
	v_fma_f16 v148, v80, 0x36a6, -v98
	v_mul_f16_e32 v99, 0xbbeb, v99
	v_add_f16_e32 v95, v96, v95
	v_fmac_f16_e32 v97, 0xb93d, v85
	v_mul_f16_e32 v118, 0xb482, v103
	v_mul_f16_e32 v103, 0xbbeb, v103
	v_add_f16_e32 v100, v101, v100
	v_fma_f16 v101, v94, 0x36a6, -v104
	v_add_f16_e32 v102, v148, v102
	v_fma_f16 v104, v82, 0xb08e, -v99
	v_add_f16_e32 v95, v97, v95
	v_fmac_f16_e32 v98, 0x36a6, v80
	v_add_f16_e32 v22, v22, v21
	v_add_f16_e32 v68, v68, v70
	;; [unrolled: 1-line block ×3, first 2 shown]
	v_fma_f16 v101, v90, 0xb08e, -v103
	v_add_f16_e32 v96, v104, v102
	v_fma_f16 v102, v91, 0xb93d, -v136
	v_fmac_f16_e32 v147, 0xb93d, v88
	v_add_f16_e32 v95, v98, v95
	v_fmac_f16_e32 v99, 0xb08e, v82
	v_add_f16_e32 v22, v27, v22
	v_add_f16_e32 v27, v72, v68
	;; [unrolled: 1-line block ×4, first 2 shown]
	v_fma_f16 v101, v92, 0xb08e, -v141
	v_add_f16_e32 v102, v21, v147
	v_fmac_f16_e32 v139, 0xb08e, v89
	v_add_f16_e32 v95, v99, v95
	v_fma_f16 v99, v91, 0xb08e, -v121
	v_fma_f16 v91, v91, 0x36a6, -v105
	v_add_f16_e32 v22, v28, v22
	v_add_f16_e32 v27, v66, v27
	v_mul_f16_e32 v106, 0x3abb, v88
	v_add_f16_e32 v97, v101, v97
	v_add_f16_e32 v101, v139, v102
	;; [unrolled: 1-line block ×3, first 2 shown]
	v_fma_f16 v102, v92, 0xbbad, -v129
	v_add_f16_e32 v91, v70, v91
	v_fma_f16 v92, v92, 0xb93d, -v109
	v_add_f16_e32 v22, v29, v22
	v_add_f16_e32 v27, v71, v27
	v_mul_f16_e32 v108, 0x36a6, v89
	v_fma_f16 v98, v93, 0x3abb, -v144
	v_fmac_f16_e32 v135, 0xb08e, v88
	v_add_f16_e32 v99, v102, v99
	v_fma_f16 v102, v93, 0x36a6, -v132
	v_add_f16_e32 v91, v92, v91
	v_fma_f16 v92, v93, 0xbbad, -v113
	v_fmac_f16_e32 v119, 0x36a6, v88
	v_sub_f16_e32 v72, v76, v107
	v_add_f16_e32 v28, v106, v75
	v_add_f16_e32 v22, v30, v22
	;; [unrolled: 1-line block ×3, first 2 shown]
	v_mul_f16_e32 v112, 0xb08e, v85
	v_fmamk_f16 v153, v90, 0xb08e, v103
	v_add_f16_e32 v97, v98, v97
	v_fma_f16 v98, v94, 0xbbad, -v146
	v_add_f16_e32 v103, v21, v135
	v_add_f16_e32 v99, v102, v99
	v_fma_f16 v102, v94, 0x3abb, -v134
	v_add_f16_e32 v91, v92, v91
	v_fma_f16 v92, v94, 0xb08e, -v117
	v_add_f16_e32 v94, v21, v119
	v_add_f16_e32 v66, v70, v72
	v_sub_f16_e32 v70, v78, v111
	v_add_f16_e32 v21, v21, v28
	v_add_f16_e32 v28, v108, v77
	;; [unrolled: 1-line block ×4, first 2 shown]
	v_mul_f16_e32 v116, 0xb93d, v80
	v_fmac_f16_e32 v127, 0xbbad, v89
	v_fmac_f16_e32 v123, 0xb93d, v89
	v_add_f16_e32 v29, v70, v66
	v_sub_f16_e32 v30, v81, v115
	v_add_f16_e32 v21, v28, v21
	v_add_f16_e32 v28, v112, v79
	;; [unrolled: 1-line block ×4, first 2 shown]
	v_mul_f16_e32 v120, 0xbbad, v82
	v_add_f16_e32 v103, v127, v103
	v_fmac_f16_e32 v138, 0x36a6, v85
	v_add_f16_e32 v89, v92, v91
	v_add_f16_e32 v91, v123, v94
	v_fmac_f16_e32 v126, 0xbbad, v85
	v_add_f16_e32 v27, v30, v29
	v_sub_f16_e32 v29, v84, v114
	v_add_f16_e32 v21, v28, v21
	v_add_f16_e32 v26, v116, v83
	;; [unrolled: 1-line block ×4, first 2 shown]
	v_fmac_f16_e32 v149, 0x3abb, v85
	v_add_f16_e32 v103, v138, v103
	v_fmac_f16_e32 v142, 0x3abb, v80
	v_add_f16_e32 v76, v126, v91
	v_add_f16_e32 v27, v29, v27
	v_sub_f16_e32 v28, v87, v118
	v_add_f16_e32 v21, v26, v21
	v_add_f16_e32 v25, v120, v86
	v_fmac_f16_e32 v130, 0xb08e, v80
	v_add_f16_e32 v22, v24, v22
	v_add_f16_e32 v23, v63, v23
	;; [unrolled: 1-line block ×3, first 2 shown]
	v_fmac_f16_e32 v152, 0xbbad, v80
	v_add_f16_e32 v99, v102, v99
	v_fma_f16 v102, v90, 0xb93d, -v131
	v_add_f16_e32 v88, v142, v103
	v_fmac_f16_e32 v145, 0xb93d, v82
	v_fma_f16 v68, v90, 0x3abb, -v124
	v_add_f16_e32 v24, v28, v27
	v_add_f16_e32 v21, v25, v21
	v_mov_b32_e32 v25, 2
	v_add_f16_e32 v22, v61, v22
	v_add_f16_e32 v23, v62, v23
	;; [unrolled: 1-line block ×3, first 2 shown]
	v_fmac_f16_e32 v133, 0x3abb, v82
	v_add_f16_e32 v97, v98, v97
	v_fma_f16 v98, v90, 0x36a6, -v143
	v_add_f16_e32 v101, v152, v101
	v_fmac_f16_e32 v154, 0x36a6, v82
	v_add_f16_e32 v93, v102, v99
	v_add_f16_e32 v88, v145, v88
	v_lshlrev_b32_sdwa v25, v25, v34 dst_sel:DWORD dst_unused:UNUSED_PAD src0_sel:DWORD src1_sel:WORD_0
	v_pack_b32_f16 v21, v21, v24
	v_pack_b32_f16 v22, v22, v23
	v_add_f16_e32 v23, v68, v89
	v_add_f16_e32 v24, v133, v26
	;; [unrolled: 1-line block ×5, first 2 shown]
	ds_write2_b32 v25, v22, v21 offset1:1
	v_pack_b32_f16 v21, v88, v93
	v_pack_b32_f16 v22, v24, v23
	;; [unrolled: 1-line block ×8, first 2 shown]
	v_perm_b32 v30, v74, v73, 0x5040100
	ds_write2_b32 v25, v22, v21 offset0:2 offset1:3
	ds_write2_b32 v25, v24, v23 offset0:4 offset1:5
	;; [unrolled: 1-line block ×4, first 2 shown]
	ds_write_b32 v25, v30 offset:40
.LBB0_21:
	s_or_b32 exec_lo, exec_lo, s1
	v_add_nc_u32_e32 v23, 0xc00, v33
	v_add_nc_u32_e32 v25, 0x1200, v33
	;; [unrolled: 1-line block ×4, first 2 shown]
	s_waitcnt lgkmcnt(0)
	s_barrier
	buffer_gl0_inv
	ds_read2_b32 v[21:22], v33 offset1:198
	ds_read2_b32 v[23:24], v23 offset0:24 offset1:222
	ds_read2_b32 v[25:26], v25 offset0:36 offset1:234
	;; [unrolled: 1-line block ×4, first 2 shown]
	s_waitcnt lgkmcnt(0)
	s_barrier
	buffer_gl0_inv
	v_lshrrev_b32_e32 v63, 16, v25
	v_lshrrev_b32_e32 v34, 16, v24
	;; [unrolled: 1-line block ×3, first 2 shown]
	v_mul_f16_sdwa v70, v39, v24 dst_sel:DWORD dst_unused:UNUSED_PAD src0_sel:WORD_1 src1_sel:DWORD
	v_mul_f16_sdwa v71, v40, v25 dst_sel:DWORD dst_unused:UNUSED_PAD src0_sel:WORD_1 src1_sel:DWORD
	v_lshrrev_b32_e32 v67, 16, v61
	v_lshrrev_b32_e32 v69, 16, v62
	v_mul_f16_sdwa v76, v39, v34 dst_sel:DWORD dst_unused:UNUSED_PAD src0_sel:WORD_1 src1_sel:DWORD
	v_fma_f16 v34, v39, v34, -v70
	v_mul_f16_sdwa v70, v40, v63 dst_sel:DWORD dst_unused:UNUSED_PAD src0_sel:WORD_1 src1_sel:DWORD
	v_fma_f16 v63, v40, v63, -v71
	v_mul_f16_sdwa v71, v41, v65 dst_sel:DWORD dst_unused:UNUSED_PAD src0_sel:WORD_1 src1_sel:DWORD
	v_mul_f16_sdwa v72, v41, v26 dst_sel:DWORD dst_unused:UNUSED_PAD src0_sel:WORD_1 src1_sel:DWORD
	v_mul_f16_sdwa v75, v38, v61 dst_sel:DWORD dst_unused:UNUSED_PAD src0_sel:WORD_1 src1_sel:DWORD
	v_mul_f16_sdwa v77, v38, v67 dst_sel:DWORD dst_unused:UNUSED_PAD src0_sel:WORD_1 src1_sel:DWORD
	v_lshrrev_b32_e32 v27, 16, v21
	v_mul_f16_sdwa v78, v37, v69 dst_sel:DWORD dst_unused:UNUSED_PAD src0_sel:WORD_1 src1_sel:DWORD
	v_fmac_f16_e32 v70, v40, v25
	v_fmac_f16_e32 v71, v41, v26
	v_mul_f16_sdwa v25, v37, v62 dst_sel:DWORD dst_unused:UNUSED_PAD src0_sel:WORD_1 src1_sel:DWORD
	v_fmac_f16_e32 v76, v39, v24
	v_lshrrev_b32_e32 v30, 16, v22
	v_lshrrev_b32_e32 v64, 16, v28
	v_fma_f16 v24, v41, v65, -v72
	v_lshrrev_b32_e32 v66, 16, v29
	v_fmac_f16_e32 v77, v38, v61
	v_fma_f16 v26, v38, v67, -v75
	v_lshrrev_b32_e32 v68, 16, v23
	v_fmac_f16_e32 v78, v37, v62
	v_fma_f16 v25, v37, v69, -v25
	v_sub_f16_e32 v34, v27, v34
	v_sub_f16_e32 v40, v28, v71
	;; [unrolled: 1-line block ×8, first 2 shown]
	v_fma_f16 v41, v27, 2.0, -v34
	v_fma_f16 v61, v28, 2.0, -v40
	v_sub_f16_e32 v27, v23, v78
	v_sub_f16_e32 v28, v68, v25
	v_fma_f16 v21, v21, 2.0, -v38
	v_fma_f16 v22, v22, 2.0, -v37
	v_fma_f16 v30, v30, 2.0, -v39
	v_fma_f16 v25, v64, 2.0, -v24
	v_fma_f16 v29, v29, 2.0, -v62
	v_fma_f16 v63, v66, 2.0, -v26
	v_fma_f16 v23, v23, 2.0, -v27
	v_fma_f16 v64, v68, 2.0, -v28
	v_pack_b32_f16 v21, v21, v41
	v_pack_b32_f16 v34, v38, v34
	;; [unrolled: 1-line block ×10, first 2 shown]
	ds_write2_b32 v46, v21, v34 offset1:11
	ds_write2_b32 v42, v22, v30 offset1:11
	;; [unrolled: 1-line block ×5, first 2 shown]
	v_add_nc_u32_e32 v23, 0xa00, v33
	v_add_nc_u32_e32 v24, 0x1400, v33
	s_waitcnt lgkmcnt(0)
	s_barrier
	buffer_gl0_inv
	ds_read2_b32 v[21:22], v33 offset1:198
	ds_read2_b32 v[25:26], v23 offset0:20 offset1:218
	ds_read2_b32 v[23:24], v24 offset0:40 offset1:238
	ds_read_b32 v29, v33 offset:1584
	ds_read_b32 v34, v33 offset:4224
	;; [unrolled: 1-line block ×3, first 2 shown]
	s_and_saveexec_b32 s1, s0
	s_cbranch_execz .LBB0_23
; %bb.22:
	ds_read_b32 v27, v33 offset:2376
	ds_read_b32 v73, v33 offset:5016
	;; [unrolled: 1-line block ×3, first 2 shown]
	s_waitcnt lgkmcnt(2)
	v_lshrrev_b32_e32 v28, 16, v27
	s_waitcnt lgkmcnt(1)
	v_lshrrev_b32_e32 v74, 16, v73
	;; [unrolled: 2-line block ×3, first 2 shown]
.LBB0_23:
	s_or_b32 exec_lo, exec_lo, s1
	s_waitcnt lgkmcnt(4)
	v_lshrrev_b32_e32 v38, 16, v25
	s_waitcnt lgkmcnt(3)
	v_lshrrev_b32_e32 v39, 16, v23
	v_lshrrev_b32_e32 v41, 16, v26
	v_mul_f16_sdwa v46, v13, v25 dst_sel:DWORD dst_unused:UNUSED_PAD src0_sel:WORD_1 src1_sel:DWORD
	v_lshrrev_b32_e32 v42, 16, v24
	v_mul_f16_sdwa v44, v13, v38 dst_sel:DWORD dst_unused:UNUSED_PAD src0_sel:WORD_1 src1_sel:DWORD
	v_mul_f16_sdwa v62, v14, v39 dst_sel:DWORD dst_unused:UNUSED_PAD src0_sel:WORD_1 src1_sel:DWORD
	s_waitcnt lgkmcnt(1)
	v_lshrrev_b32_e32 v45, 16, v34
	s_waitcnt lgkmcnt(0)
	v_lshrrev_b32_e32 v61, 16, v30
	v_lshrrev_b32_e32 v37, 16, v21
	v_fmac_f16_e32 v44, v13, v25
	v_mul_f16_sdwa v25, v14, v23 dst_sel:DWORD dst_unused:UNUSED_PAD src0_sel:WORD_1 src1_sel:DWORD
	v_fma_f16 v13, v13, v38, -v46
	v_mul_f16_sdwa v38, v11, v41 dst_sel:DWORD dst_unused:UNUSED_PAD src0_sel:WORD_1 src1_sel:DWORD
	v_fmac_f16_e32 v62, v14, v23
	v_mul_f16_sdwa v23, v11, v26 dst_sel:DWORD dst_unused:UNUSED_PAD src0_sel:WORD_1 src1_sel:DWORD
	v_fma_f16 v14, v14, v39, -v25
	v_mul_f16_sdwa v25, v12, v42 dst_sel:DWORD dst_unused:UNUSED_PAD src0_sel:WORD_1 src1_sel:DWORD
	;; [unrolled: 4-line block ×6, first 2 shown]
	v_fmac_f16_e32 v24, v5, v73
	v_mul_f16_sdwa v39, v6, v59 dst_sel:DWORD dst_unused:UNUSED_PAD src0_sel:WORD_1 src1_sel:DWORD
	v_fma_f16 v5, v5, v74, -v30
	v_add_f16_e32 v30, v44, v62
	v_fmac_f16_e32 v34, v6, v59
	v_add_f16_e32 v41, v21, v44
	v_fma_f16 v6, v6, v60, -v39
	v_add_f16_e32 v39, v13, v14
	v_fma_f16 v30, -0.5, v30, v21
	v_sub_f16_e32 v21, v13, v14
	v_add_f16_e32 v13, v37, v13
	v_lshrrev_b32_e32 v40, 16, v22
	v_fmac_f16_e32 v37, -0.5, v39
	v_sub_f16_e32 v39, v44, v62
	v_fmamk_f16 v42, v21, 0xbaee, v30
	v_add_f16_e32 v44, v13, v14
	v_add_f16_e32 v13, v38, v25
	v_fmac_f16_e32 v30, 0x3aee, v21
	v_add_f16_e32 v14, v22, v38
	v_add_f16_e32 v21, v11, v12
	v_lshrrev_b32_e32 v43, 16, v29
	v_fmac_f16_e32 v22, -0.5, v13
	v_sub_f16_e32 v13, v11, v12
	v_add_f16_e32 v11, v40, v11
	v_fmamk_f16 v45, v39, 0x3aee, v37
	v_fmac_f16_e32 v37, 0xbaee, v39
	v_add_f16_e32 v39, v14, v25
	v_fmac_f16_e32 v40, -0.5, v21
	v_sub_f16_e32 v14, v38, v25
	v_add_f16_e32 v11, v11, v12
	v_add_f16_e32 v12, v23, v26
	v_fmamk_f16 v25, v13, 0xbaee, v22
	v_fmac_f16_e32 v22, 0x3aee, v13
	v_fmamk_f16 v38, v14, 0x3aee, v40
	v_add_f16_e32 v13, v29, v23
	v_fmac_f16_e32 v40, 0xbaee, v14
	v_add_f16_e32 v14, v7, v8
	v_fmac_f16_e32 v29, -0.5, v12
	v_sub_f16_e32 v12, v7, v8
	v_add_f16_e32 v7, v43, v7
	v_add_f16_e32 v46, v13, v26
	v_fmac_f16_e32 v43, -0.5, v14
	v_sub_f16_e32 v13, v23, v26
	v_add_f16_e32 v41, v41, v62
	v_add_f16_e32 v7, v7, v8
	;; [unrolled: 1-line block ×3, first 2 shown]
	v_fmamk_f16 v26, v12, 0xbaee, v29
	v_fmac_f16_e32 v29, 0x3aee, v12
	v_fmamk_f16 v12, v13, 0x3aee, v43
	v_fmac_f16_e32 v43, 0xbaee, v13
	v_add_f16_e32 v13, v5, v6
	v_add_f16_e32 v14, v24, v27
	v_fmac_f16_e32 v27, -0.5, v8
	v_sub_f16_e32 v8, v5, v6
	v_add_f16_e32 v5, v5, v28
	v_fmac_f16_e32 v28, -0.5, v13
	v_sub_f16_e32 v24, v24, v34
	v_add_f16_e32 v13, v14, v34
	v_fmamk_f16 v21, v8, 0xbaee, v27
	v_add_f16_e32 v14, v6, v5
	v_pack_b32_f16 v5, v41, v44
	v_pack_b32_f16 v6, v42, v45
	v_fmac_f16_e32 v27, 0x3aee, v8
	v_fmamk_f16 v23, v24, 0x3aee, v28
	v_fmac_f16_e32 v28, 0xbaee, v24
	s_barrier
	buffer_gl0_inv
	ds_write2_b32 v50, v5, v6 offset1:22
	v_pack_b32_f16 v5, v30, v37
	v_pack_b32_f16 v6, v39, v11
	;; [unrolled: 1-line block ×7, first 2 shown]
	ds_write_b32 v50, v5 offset:176
	ds_write2_b32 v49, v6, v8 offset1:22
	ds_write_b32 v49, v11 offset:176
	ds_write2_b32 v48, v7, v12 offset1:22
	ds_write_b32 v48, v22 offset:176
	s_and_saveexec_b32 s1, s0
	s_cbranch_execz .LBB0_25
; %bb.24:
	v_mad_u16 v5, 0x42, v35, v36
	v_mov_b32_e32 v6, 2
	v_perm_b32 v7, v14, v13, 0x5040100
	v_perm_b32 v8, v23, v21, 0x5040100
	v_lshlrev_b32_sdwa v5, v6, v5 dst_sel:DWORD dst_unused:UNUSED_PAD src0_sel:DWORD src1_sel:WORD_0
	v_perm_b32 v6, v28, v27, 0x5040100
	ds_write2_b32 v5, v7, v8 offset1:22
	ds_write_b32 v5, v6 offset:176
.LBB0_25:
	s_or_b32 exec_lo, exec_lo, s1
	v_add_nc_u32_e32 v7, 0xa00, v33
	v_add_nc_u32_e32 v8, 0x1400, v33
	s_waitcnt lgkmcnt(0)
	s_barrier
	buffer_gl0_inv
	ds_read2_b32 v[5:6], v33 offset1:198
	ds_read2_b32 v[11:12], v7 offset0:20 offset1:218
	ds_read2_b32 v[7:8], v8 offset0:40 offset1:238
	ds_read_b32 v22, v33 offset:1584
	ds_read_b32 v25, v33 offset:4224
	;; [unrolled: 1-line block ×3, first 2 shown]
	s_and_saveexec_b32 s1, s0
	s_cbranch_execz .LBB0_27
; %bb.26:
	ds_read_b32 v13, v33 offset:2376
	ds_read_b32 v21, v33 offset:5016
	;; [unrolled: 1-line block ×3, first 2 shown]
	s_waitcnt lgkmcnt(2)
	v_lshrrev_b32_e32 v14, 16, v13
	s_waitcnt lgkmcnt(1)
	v_lshrrev_b32_e32 v23, 16, v21
	s_waitcnt lgkmcnt(0)
	v_lshrrev_b32_e32 v28, 16, v27
.LBB0_27:
	s_or_b32 exec_lo, exec_lo, s1
	s_waitcnt lgkmcnt(4)
	v_lshrrev_b32_e32 v29, 16, v11
	s_waitcnt lgkmcnt(3)
	v_lshrrev_b32_e32 v30, 16, v7
	v_lshrrev_b32_e32 v35, 16, v12
	v_mul_f16_sdwa v40, v19, v11 dst_sel:DWORD dst_unused:UNUSED_PAD src0_sel:WORD_1 src1_sel:DWORD
	v_lshrrev_b32_e32 v36, 16, v8
	v_mul_f16_sdwa v38, v19, v29 dst_sel:DWORD dst_unused:UNUSED_PAD src0_sel:WORD_1 src1_sel:DWORD
	v_mul_f16_sdwa v42, v20, v30 dst_sel:DWORD dst_unused:UNUSED_PAD src0_sel:WORD_1 src1_sel:DWORD
	s_waitcnt lgkmcnt(1)
	v_lshrrev_b32_e32 v39, 16, v25
	s_waitcnt lgkmcnt(0)
	v_lshrrev_b32_e32 v41, 16, v24
	v_lshrrev_b32_e32 v26, 16, v5
	v_fmac_f16_e32 v38, v19, v11
	v_mul_f16_sdwa v11, v20, v7 dst_sel:DWORD dst_unused:UNUSED_PAD src0_sel:WORD_1 src1_sel:DWORD
	v_fma_f16 v19, v19, v29, -v40
	v_mul_f16_sdwa v29, v17, v35 dst_sel:DWORD dst_unused:UNUSED_PAD src0_sel:WORD_1 src1_sel:DWORD
	v_fmac_f16_e32 v42, v20, v7
	v_mul_f16_sdwa v7, v17, v12 dst_sel:DWORD dst_unused:UNUSED_PAD src0_sel:WORD_1 src1_sel:DWORD
	v_fma_f16 v11, v20, v30, -v11
	v_mul_f16_sdwa v20, v18, v36 dst_sel:DWORD dst_unused:UNUSED_PAD src0_sel:WORD_1 src1_sel:DWORD
	;; [unrolled: 4-line block ×4, first 2 shown]
	v_fmac_f16_e32 v17, v15, v25
	v_mul_f16_sdwa v25, v16, v24 dst_sel:DWORD dst_unused:UNUSED_PAD src0_sel:WORD_1 src1_sel:DWORD
	v_fma_f16 v8, v15, v39, -v8
	v_add_f16_e32 v15, v38, v42
	v_fmac_f16_e32 v18, v16, v24
	v_add_f16_e32 v24, v5, v38
	v_fma_f16 v16, v16, v41, -v25
	v_add_f16_e32 v25, v19, v11
	v_fma_f16 v5, -0.5, v15, v5
	v_sub_f16_e32 v15, v19, v11
	v_add_f16_e32 v19, v26, v19
	v_lshrrev_b32_e32 v34, 16, v6
	v_fmac_f16_e32 v26, -0.5, v25
	v_sub_f16_e32 v25, v38, v42
	v_fmamk_f16 v30, v15, 0xbaee, v5
	v_fmac_f16_e32 v5, 0x3aee, v15
	v_add_f16_e32 v15, v29, v20
	v_add_f16_e32 v11, v19, v11
	v_fmamk_f16 v19, v25, 0x3aee, v26
	v_add_f16_e32 v35, v6, v29
	v_fmac_f16_e32 v26, 0xbaee, v25
	v_add_f16_e32 v25, v7, v12
	v_fmac_f16_e32 v6, -0.5, v15
	v_sub_f16_e32 v15, v7, v12
	v_add_f16_e32 v7, v34, v7
	v_add_f16_e32 v35, v35, v20
	v_fmac_f16_e32 v34, -0.5, v25
	v_sub_f16_e32 v20, v29, v20
	v_lshrrev_b32_e32 v37, 16, v22
	v_add_f16_e32 v7, v7, v12
	v_add_f16_e32 v12, v17, v18
	v_fmamk_f16 v25, v15, 0xbaee, v6
	v_fmac_f16_e32 v6, 0x3aee, v15
	v_fmamk_f16 v15, v20, 0x3aee, v34
	v_fmac_f16_e32 v34, 0xbaee, v20
	v_add_f16_e32 v20, v8, v16
	v_add_f16_e32 v24, v24, v42
	;; [unrolled: 1-line block ×3, first 2 shown]
	v_fmac_f16_e32 v22, -0.5, v12
	v_sub_f16_e32 v12, v8, v16
	v_add_f16_e32 v8, v37, v8
	v_fmac_f16_e32 v37, -0.5, v20
	v_sub_f16_e32 v17, v17, v18
	v_pack_b32_f16 v11, v24, v11
	v_add_f16_e32 v18, v29, v18
	v_add_f16_e32 v8, v8, v16
	v_pack_b32_f16 v16, v30, v19
	v_fmamk_f16 v20, v12, 0xbaee, v22
	v_fmac_f16_e32 v22, 0x3aee, v12
	v_fmamk_f16 v12, v17, 0x3aee, v37
	v_fmac_f16_e32 v37, 0xbaee, v17
	v_pack_b32_f16 v5, v5, v26
	s_barrier
	buffer_gl0_inv
	ds_write2_b32 v53, v11, v16 offset1:66
	v_pack_b32_f16 v7, v35, v7
	v_pack_b32_f16 v11, v25, v15
	;; [unrolled: 1-line block ×6, first 2 shown]
	ds_write_b32 v53, v5 offset:528
	ds_write2_b32 v52, v7, v11 offset1:66
	ds_write_b32 v52, v6 offset:528
	ds_write2_b32 v51, v8, v12 offset1:66
	ds_write_b32 v51, v15 offset:528
	s_and_saveexec_b32 s1, s0
	s_cbranch_execz .LBB0_29
; %bb.28:
	v_mul_f16_sdwa v5, v10, v27 dst_sel:DWORD dst_unused:UNUSED_PAD src0_sel:WORD_1 src1_sel:DWORD
	v_mul_f16_sdwa v6, v9, v21 dst_sel:DWORD dst_unused:UNUSED_PAD src0_sel:WORD_1 src1_sel:DWORD
	;; [unrolled: 1-line block ×4, first 2 shown]
	v_fma_f16 v5, v10, v28, -v5
	v_fma_f16 v6, v9, v23, -v6
	v_fmac_f16_e32 v7, v9, v21
	v_fmac_f16_e32 v8, v10, v27
	v_mov_b32_e32 v9, 2
	v_add_f16_e32 v10, v6, v5
	v_add_f16_e32 v11, v6, v14
	;; [unrolled: 1-line block ×4, first 2 shown]
	v_sub_f16_e32 v7, v7, v8
	v_fmac_f16_e32 v14, -0.5, v10
	v_sub_f16_e32 v6, v6, v5
	v_fmac_f16_e32 v13, -0.5, v12
	v_add_f16_e32 v5, v5, v11
	v_add_f16_e32 v8, v15, v8
	v_fmamk_f16 v10, v7, 0xbaee, v14
	v_fmac_f16_e32 v14, 0x3aee, v7
	v_fmamk_f16 v7, v6, 0x3aee, v13
	v_fmac_f16_e32 v13, 0xbaee, v6
	v_lshlrev_b32_sdwa v6, v9, v47 dst_sel:DWORD dst_unused:UNUSED_PAD src0_sel:DWORD src1_sel:WORD_0
	v_pack_b32_f16 v5, v8, v5
	v_pack_b32_f16 v7, v7, v10
	v_pack_b32_f16 v8, v13, v14
	v_add_nc_u32_e32 v9, 0x1a00, v6
	ds_write2_b32 v9, v5, v8 offset0:118 offset1:184
	ds_write_b32 v6, v7 offset:7656
.LBB0_29:
	s_or_b32 exec_lo, exec_lo, s1
	v_add_nc_u32_e32 v15, 0x600, v33
	v_add_nc_u32_e32 v16, 0xc00, v33
	;; [unrolled: 1-line block ×4, first 2 shown]
	s_waitcnt lgkmcnt(0)
	s_barrier
	buffer_gl0_inv
	ds_read2_b32 v[5:6], v33 offset1:198
	ds_read2_b32 v[7:8], v15 offset0:12 offset1:210
	ds_read2_b32 v[9:10], v16 offset0:24 offset1:222
	ds_read2_b32 v[11:12], v17 offset0:36 offset1:234
	ds_read2_b32 v[13:14], v18 offset0:48 offset1:246
	s_waitcnt lgkmcnt(0)
	s_barrier
	buffer_gl0_inv
	v_lshrrev_b32_e32 v21, 16, v7
	v_lshrrev_b32_e32 v22, 16, v9
	;; [unrolled: 1-line block ×3, first 2 shown]
	v_mul_f16_sdwa v28, v0, v7 dst_sel:DWORD dst_unused:UNUSED_PAD src0_sel:WORD_1 src1_sel:DWORD
	v_mul_f16_sdwa v30, v1, v9 dst_sel:DWORD dst_unused:UNUSED_PAD src0_sel:WORD_1 src1_sel:DWORD
	v_lshrrev_b32_e32 v24, 16, v13
	v_lshrrev_b32_e32 v25, 16, v8
	v_mul_f16_sdwa v35, v0, v21 dst_sel:DWORD dst_unused:UNUSED_PAD src0_sel:WORD_1 src1_sel:DWORD
	v_fma_f16 v21, v0, v21, -v28
	v_mul_f16_sdwa v28, v1, v22 dst_sel:DWORD dst_unused:UNUSED_PAD src0_sel:WORD_1 src1_sel:DWORD
	v_fma_f16 v22, v1, v22, -v30
	v_mul_f16_sdwa v30, v2, v23 dst_sel:DWORD dst_unused:UNUSED_PAD src0_sel:WORD_1 src1_sel:DWORD
	v_lshrrev_b32_e32 v26, 16, v10
	v_mul_f16_sdwa v34, v2, v11 dst_sel:DWORD dst_unused:UNUSED_PAD src0_sel:WORD_1 src1_sel:DWORD
	v_mul_f16_sdwa v36, v3, v24 dst_sel:DWORD dst_unused:UNUSED_PAD src0_sel:WORD_1 src1_sel:DWORD
	v_fmac_f16_e32 v35, v0, v7
	v_fmac_f16_e32 v28, v1, v9
	;; [unrolled: 1-line block ×3, first 2 shown]
	v_mul_f16_sdwa v7, v3, v13 dst_sel:DWORD dst_unused:UNUSED_PAD src0_sel:WORD_1 src1_sel:DWORD
	v_mul_f16_sdwa v9, v0, v25 dst_sel:DWORD dst_unused:UNUSED_PAD src0_sel:WORD_1 src1_sel:DWORD
	v_lshrrev_b32_e32 v27, 16, v12
	v_lshrrev_b32_e32 v29, 16, v14
	v_fma_f16 v23, v2, v23, -v34
	v_fmac_f16_e32 v36, v3, v13
	v_mul_f16_sdwa v11, v0, v8 dst_sel:DWORD dst_unused:UNUSED_PAD src0_sel:WORD_1 src1_sel:DWORD
	v_mul_f16_sdwa v13, v1, v26 dst_sel:DWORD dst_unused:UNUSED_PAD src0_sel:WORD_1 src1_sel:DWORD
	;; [unrolled: 1-line block ×3, first 2 shown]
	v_fma_f16 v7, v3, v24, -v7
	v_fmac_f16_e32 v9, v0, v8
	v_add_f16_e32 v8, v28, v30
	v_lshrrev_b32_e32 v19, 16, v5
	v_fma_f16 v0, v0, v25, -v11
	v_fmac_f16_e32 v13, v1, v10
	v_fma_f16 v1, v1, v26, -v34
	v_mul_f16_sdwa v10, v2, v27 dst_sel:DWORD dst_unused:UNUSED_PAD src0_sel:WORD_1 src1_sel:DWORD
	v_mul_f16_sdwa v11, v2, v12 dst_sel:DWORD dst_unused:UNUSED_PAD src0_sel:WORD_1 src1_sel:DWORD
	;; [unrolled: 1-line block ×3, first 2 shown]
	v_add_f16_e32 v25, v5, v35
	v_fma_f16 v8, -0.5, v8, v5
	v_sub_f16_e32 v26, v21, v7
	v_add_f16_e32 v37, v35, v36
	v_fmac_f16_e32 v10, v2, v12
	v_fma_f16 v2, v2, v27, -v11
	v_fmac_f16_e32 v24, v3, v14
	v_add_f16_e32 v11, v25, v28
	v_fmamk_f16 v12, v26, 0xbb9c, v8
	v_sub_f16_e32 v25, v22, v23
	v_sub_f16_e32 v27, v35, v28
	;; [unrolled: 1-line block ×3, first 2 shown]
	v_mul_f16_sdwa v14, v3, v14 dst_sel:DWORD dst_unused:UNUSED_PAD src0_sel:WORD_1 src1_sel:DWORD
	v_fma_f16 v5, -0.5, v37, v5
	v_fmac_f16_e32 v8, 0x3b9c, v26
	v_add_f16_e32 v37, v19, v21
	v_fmac_f16_e32 v12, 0xb8b4, v25
	v_add_f16_e32 v27, v27, v34
	v_fma_f16 v3, v3, v29, -v14
	v_fmamk_f16 v14, v25, 0x3b9c, v5
	v_sub_f16_e32 v29, v28, v35
	v_sub_f16_e32 v34, v30, v36
	v_fmac_f16_e32 v8, 0x38b4, v25
	v_add_f16_e32 v38, v22, v23
	v_fmac_f16_e32 v5, 0xbb9c, v25
	v_add_f16_e32 v25, v37, v22
	v_add_f16_e32 v11, v11, v30
	v_fmac_f16_e32 v12, 0x34f2, v27
	v_add_f16_e32 v29, v29, v34
	v_fma_f16 v34, -0.5, v38, v19
	v_sub_f16_e32 v35, v35, v36
	v_fmac_f16_e32 v8, 0x34f2, v27
	v_add_f16_e32 v25, v25, v23
	v_add_f16_e32 v27, v21, v7
	;; [unrolled: 1-line block ×3, first 2 shown]
	v_fmac_f16_e32 v14, 0xb8b4, v26
	v_fmac_f16_e32 v5, 0x38b4, v26
	v_fmamk_f16 v26, v35, 0x3b9c, v34
	v_sub_f16_e32 v28, v28, v30
	v_sub_f16_e32 v30, v21, v22
	;; [unrolled: 1-line block ×3, first 2 shown]
	v_fmac_f16_e32 v19, -0.5, v27
	v_add_f16_e32 v25, v25, v7
	v_fmac_f16_e32 v34, 0xbb9c, v35
	v_sub_f16_e32 v21, v22, v21
	v_sub_f16_e32 v7, v23, v7
	v_add_f16_e32 v22, v13, v10
	v_fmac_f16_e32 v14, 0x34f2, v29
	v_fmac_f16_e32 v5, 0x34f2, v29
	;; [unrolled: 1-line block ×3, first 2 shown]
	v_add_f16_e32 v27, v30, v36
	v_fmamk_f16 v29, v28, 0xbb9c, v19
	v_fmac_f16_e32 v34, 0xb8b4, v28
	v_add_f16_e32 v7, v21, v7
	v_fmac_f16_e32 v19, 0x3b9c, v28
	v_add_f16_e32 v21, v6, v9
	v_fma_f16 v22, -0.5, v22, v6
	v_sub_f16_e32 v23, v0, v3
	v_fmac_f16_e32 v26, 0x34f2, v27
	v_fmac_f16_e32 v29, 0x38b4, v35
	;; [unrolled: 1-line block ×4, first 2 shown]
	v_add_f16_e32 v21, v21, v13
	v_fmamk_f16 v27, v23, 0xbb9c, v22
	v_sub_f16_e32 v28, v1, v2
	v_sub_f16_e32 v30, v9, v13
	;; [unrolled: 1-line block ×3, first 2 shown]
	v_fmac_f16_e32 v22, 0x3b9c, v23
	v_add_f16_e32 v36, v9, v24
	v_lshrrev_b32_e32 v20, 16, v6
	v_add_f16_e32 v21, v21, v10
	v_fmac_f16_e32 v27, 0xb8b4, v28
	v_add_f16_e32 v30, v30, v35
	v_fmac_f16_e32 v22, 0x38b4, v28
	v_fmac_f16_e32 v6, -0.5, v36
	v_sub_f16_e32 v35, v13, v9
	v_sub_f16_e32 v36, v10, v24
	v_fmac_f16_e32 v29, 0x34f2, v7
	v_fmac_f16_e32 v19, 0x34f2, v7
	v_add_f16_e32 v7, v21, v24
	v_fmac_f16_e32 v27, 0x34f2, v30
	v_fmac_f16_e32 v22, 0x34f2, v30
	v_fmamk_f16 v21, v28, 0x3b9c, v6
	v_add_f16_e32 v30, v1, v2
	v_fmac_f16_e32 v6, 0xbb9c, v28
	v_add_f16_e32 v28, v20, v0
	v_sub_f16_e32 v9, v9, v24
	v_add_f16_e32 v24, v35, v36
	v_add_f16_e32 v35, v0, v3
	v_fma_f16 v30, -0.5, v30, v20
	v_fmac_f16_e32 v21, 0xb8b4, v23
	v_fmac_f16_e32 v6, 0x38b4, v23
	v_add_f16_e32 v23, v28, v1
	v_sub_f16_e32 v10, v13, v10
	v_fmac_f16_e32 v20, -0.5, v35
	v_fmamk_f16 v28, v9, 0x3b9c, v30
	v_fmac_f16_e32 v21, 0x34f2, v24
	v_fmac_f16_e32 v6, 0x34f2, v24
	v_add_f16_e32 v13, v23, v2
	v_sub_f16_e32 v23, v0, v1
	v_sub_f16_e32 v24, v3, v2
	v_fmamk_f16 v35, v10, 0xbb9c, v20
	v_sub_f16_e32 v0, v1, v0
	v_sub_f16_e32 v1, v2, v3
	v_fmac_f16_e32 v30, 0xbb9c, v9
	v_fmac_f16_e32 v20, 0x3b9c, v10
	;; [unrolled: 1-line block ×3, first 2 shown]
	v_add_f16_e32 v2, v23, v24
	v_fmac_f16_e32 v35, 0x38b4, v9
	v_add_f16_e32 v0, v0, v1
	v_fmac_f16_e32 v30, 0xb8b4, v10
	v_fmac_f16_e32 v20, 0xb8b4, v9
	v_add_f16_e32 v1, v13, v3
	v_fmac_f16_e32 v28, 0x34f2, v2
	v_fmac_f16_e32 v35, 0x34f2, v0
	v_fmac_f16_e32 v30, 0x34f2, v2
	v_fmac_f16_e32 v20, 0x34f2, v0
	v_pack_b32_f16 v0, v11, v25
	v_pack_b32_f16 v2, v12, v26
	;; [unrolled: 1-line block ×10, first 2 shown]
	ds_write2_b32 v33, v0, v2 offset1:198
	ds_write2_b32 v15, v3, v5 offset0:12 offset1:210
	ds_write2_b32 v16, v8, v1 offset0:24 offset1:222
	ds_write2_b32 v17, v7, v9 offset0:36 offset1:234
	ds_write2_b32 v18, v6, v10 offset0:48 offset1:246
	s_waitcnt lgkmcnt(0)
	s_barrier
	buffer_gl0_inv
	ds_read2_b32 v[0:1], v33 offset1:198
	ds_read2_b32 v[2:3], v16 offset0:24 offset1:222
	ds_read2_b32 v[5:6], v17 offset0:36 offset1:234
	;; [unrolled: 1-line block ×4, first 2 shown]
	s_waitcnt lgkmcnt(4)
	v_lshrrev_b32_e32 v11, 16, v0
	s_waitcnt lgkmcnt(3)
	v_lshrrev_b32_e32 v12, 16, v3
	;; [unrolled: 2-line block ×3, first 2 shown]
	v_lshrrev_b32_e32 v20, 16, v6
	v_mul_f16_sdwa v28, v58, v5 dst_sel:DWORD dst_unused:UNUSED_PAD src0_sel:WORD_1 src1_sel:DWORD
	s_waitcnt lgkmcnt(0)
	v_lshrrev_b32_e32 v22, 16, v9
	v_mul_f16_sdwa v24, v54, v12 dst_sel:DWORD dst_unused:UNUSED_PAD src0_sel:WORD_1 src1_sel:DWORD
	v_mul_f16_sdwa v27, v58, v14 dst_sel:DWORD dst_unused:UNUSED_PAD src0_sel:WORD_1 src1_sel:DWORD
	;; [unrolled: 1-line block ×3, first 2 shown]
	v_lshrrev_b32_e32 v25, 16, v10
	v_lshrrev_b32_e32 v13, 16, v1
	v_fmac_f16_e32 v24, v54, v3
	v_mul_f16_sdwa v3, v56, v20 dst_sel:DWORD dst_unused:UNUSED_PAD src0_sel:WORD_1 src1_sel:DWORD
	v_fmac_f16_e32 v27, v58, v5
	v_fma_f16 v5, v58, v14, -v28
	v_mul_f16_sdwa v14, v56, v6 dst_sel:DWORD dst_unused:UNUSED_PAD src0_sel:WORD_1 src1_sel:DWORD
	v_fma_f16 v12, v54, v12, -v26
	v_fmac_f16_e32 v3, v56, v6
	v_mul_f16_sdwa v6, v55, v22 dst_sel:DWORD dst_unused:UNUSED_PAD src0_sel:WORD_1 src1_sel:DWORD
	v_mul_f16_sdwa v26, v55, v9 dst_sel:DWORD dst_unused:UNUSED_PAD src0_sel:WORD_1 src1_sel:DWORD
	;; [unrolled: 1-line block ×3, first 2 shown]
	v_fma_f16 v14, v56, v20, -v14
	v_mul_f16_sdwa v20, v57, v10 dst_sel:DWORD dst_unused:UNUSED_PAD src0_sel:WORD_1 src1_sel:DWORD
	v_lshrrev_b32_e32 v19, 16, v7
	v_lshrrev_b32_e32 v21, 16, v8
	v_fmac_f16_e32 v6, v55, v9
	v_fma_f16 v9, v55, v22, -v26
	v_lshrrev_b32_e32 v23, 16, v2
	v_fmac_f16_e32 v28, v57, v10
	v_fma_f16 v20, v57, v25, -v20
	v_sub_f16_e32 v10, v0, v24
	v_sub_f16_e32 v12, v11, v12
	;; [unrolled: 1-line block ×10, first 2 shown]
	v_fma_f16 v0, v0, 2.0, -v10
	v_fma_f16 v11, v11, 2.0, -v12
	;; [unrolled: 1-line block ×10, first 2 shown]
	v_pack_b32_f16 v0, v0, v11
	v_pack_b32_f16 v1, v1, v13
	;; [unrolled: 1-line block ×10, first 2 shown]
	ds_write2_b32 v33, v0, v1 offset1:198
	ds_write2_b32 v17, v5, v3 offset0:36 offset1:234
	ds_write2_b32 v15, v7, v8 offset0:12 offset1:210
	;; [unrolled: 1-line block ×4, first 2 shown]
	s_waitcnt lgkmcnt(0)
	s_barrier
	buffer_gl0_inv
	s_and_b32 exec_lo, exec_lo, vcc_lo
	s_cbranch_execz .LBB0_31
; %bb.30:
	v_add_co_u32 v5, s0, s14, v31
	v_add_co_ci_u32_e64 v7, null, s15, 0, s0
	s_clause 0x2
	global_load_dword v2, v31, s[14:15]
	global_load_dword v3, v31, s[14:15] offset:720
	global_load_dword v6, v31, s[14:15] offset:1440
	v_add_co_u32 v0, vcc_lo, 0x800, v5
	v_add_co_ci_u32_e32 v1, vcc_lo, 0, v7, vcc_lo
	v_mad_u64_u32 v[13:14], null, s6, v4, 0
	v_mad_u64_u32 v[15:16], null, s4, v32, 0
	s_clause 0x2
	global_load_dword v8, v[0:1], off offset:112
	global_load_dword v10, v[0:1], off offset:832
	;; [unrolled: 1-line block ×3, first 2 shown]
	v_add_nc_u32_e32 v0, 0x200, v31
	v_add_nc_u32_e32 v1, 0x800, v31
	;; [unrolled: 1-line block ×3, first 2 shown]
	ds_read_b32 v28, v33
	ds_read2_b32 v[17:18], v0 offset0:52 offset1:232
	ds_read2_b32 v[19:20], v1 offset0:28 offset1:208
	;; [unrolled: 1-line block ×3, first 2 shown]
	v_mov_b32_e32 v9, v14
	v_add_co_u32 v21, vcc_lo, 0x1000, v5
	v_add_co_ci_u32_e32 v22, vcc_lo, 0, v7, vcc_lo
	s_mov_b32 s14, 0xb37565e2
	s_mov_b32 s15, 0x3f408cab
	s_mul_i32 s0, s5, 0x2d0
	s_mul_hi_u32 s16, s4, 0x2d0
	s_mul_i32 s17, s4, 0x2d0
	s_add_i32 s16, s16, s0
	s_waitcnt lgkmcnt(1)
	v_lshrrev_b32_e32 v29, 16, v20
	s_waitcnt lgkmcnt(0)
	v_lshrrev_b32_e32 v36, 16, v0
	s_waitcnt vmcnt(3)
	v_mul_f16_sdwa v30, v18, v6 dst_sel:DWORD dst_unused:UNUSED_PAD src0_sel:DWORD src1_sel:WORD_1
	s_waitcnt vmcnt(1)
	v_mad_u64_u32 v[23:24], null, s7, v4, v[9:10]
	v_mov_b32_e32 v4, v16
	v_add_co_u32 v24, vcc_lo, 0x1800, v5
	v_add_co_ci_u32_e32 v25, vcc_lo, 0, v7, vcc_lo
	v_mad_u64_u32 v[26:27], null, s5, v32, v[4:5]
	v_mov_b32_e32 v14, v23
	s_clause 0x4
	global_load_dword v11, v[21:22], off offset:224
	global_load_dword v9, v[21:22], off offset:944
	;; [unrolled: 1-line block ×5, first 2 shown]
	v_lshrrev_b32_e32 v21, 16, v28
	v_lshrrev_b32_e32 v22, 16, v17
	v_mul_f16_sdwa v25, v17, v3 dst_sel:DWORD dst_unused:UNUSED_PAD src0_sel:DWORD src1_sel:WORD_1
	v_lshlrev_b64 v[13:14], 2, v[13:14]
	v_mov_b32_e32 v16, v26
	v_lshrrev_b32_e32 v23, 16, v18
	v_mul_f16_sdwa v24, v22, v3 dst_sel:DWORD dst_unused:UNUSED_PAD src0_sel:DWORD src1_sel:WORD_1
	v_lshrrev_b32_e32 v27, 16, v19
	s_waitcnt vmcnt(5)
	v_mul_f16_sdwa v34, v36, v12 dst_sel:DWORD dst_unused:UNUSED_PAD src0_sel:DWORD src1_sel:WORD_1
	v_lshlrev_b64 v[15:16], 2, v[15:16]
	v_add_co_u32 v13, vcc_lo, s12, v13
	v_add_co_ci_u32_e32 v14, vcc_lo, s13, v14, vcc_lo
	v_fmac_f16_e32 v24, v17, v3
	v_add_co_u32 v13, vcc_lo, v13, v15
	v_mul_f16_sdwa v15, v21, v2 dst_sel:DWORD dst_unused:UNUSED_PAD src0_sel:DWORD src1_sel:WORD_1
	v_add_co_ci_u32_e32 v14, vcc_lo, v14, v16, vcc_lo
	v_mul_f16_sdwa v16, v28, v2 dst_sel:DWORD dst_unused:UNUSED_PAD src0_sel:DWORD src1_sel:WORD_1
	v_fma_f16 v3, v3, v22, -v25
	v_fmac_f16_e32 v15, v28, v2
	v_mul_f16_sdwa v26, v23, v6 dst_sel:DWORD dst_unused:UNUSED_PAD src0_sel:DWORD src1_sel:WORD_1
	v_cvt_f32_f16_e32 v17, v24
	v_fma_f16 v2, v2, v21, -v16
	v_cvt_f32_f16_e32 v21, v3
	v_cvt_f32_f16_e32 v15, v15
	v_fmac_f16_e32 v26, v18, v6
	v_cvt_f64_f32_e32 v[17:18], v17
	v_cvt_f32_f16_e32 v16, v2
	v_fma_f16 v6, v6, v23, -v30
	v_cvt_f64_f32_e32 v[2:3], v15
	v_cvt_f32_f16_e32 v23, v26
	v_cvt_f64_f32_e32 v[21:22], v21
	v_cvt_f64_f32_e32 v[15:16], v16
	v_mul_f16_sdwa v28, v27, v8 dst_sel:DWORD dst_unused:UNUSED_PAD src0_sel:DWORD src1_sel:WORD_1
	v_cvt_f32_f16_e32 v6, v6
	v_cvt_f64_f32_e32 v[23:24], v23
	v_mul_f16_sdwa v32, v29, v10 dst_sel:DWORD dst_unused:UNUSED_PAD src0_sel:DWORD src1_sel:WORD_1
	v_mul_f16_sdwa v37, v0, v12 dst_sel:DWORD dst_unused:UNUSED_PAD src0_sel:DWORD src1_sel:WORD_1
	v_fmac_f16_e32 v28, v19, v8
	v_cvt_f64_f32_e32 v[25:26], v6
	v_fmac_f16_e32 v34, v0, v12
	v_mul_f16_sdwa v30, v19, v8 dst_sel:DWORD dst_unused:UNUSED_PAD src0_sel:DWORD src1_sel:WORD_1
	v_mul_f16_sdwa v33, v20, v10 dst_sel:DWORD dst_unused:UNUSED_PAD src0_sel:DWORD src1_sel:WORD_1
	v_cvt_f32_f16_e32 v0, v28
	v_fmac_f16_e32 v32, v20, v10
	v_cvt_f32_f16_e32 v34, v34
	v_fma_f16 v6, v8, v27, -v30
	v_fma_f16 v8, v10, v29, -v33
	v_mul_f64 v[17:18], v[17:18], s[14:15]
	v_cvt_f64_f32_e32 v[19:20], v0
	v_fma_f16 v0, v12, v36, -v37
	v_mul_f64 v[2:3], v[2:3], s[14:15]
	v_add_co_u32 v36, vcc_lo, v13, s17
	v_mul_f64 v[15:16], v[15:16], s[14:15]
	v_mul_f64 v[21:22], v[21:22], s[14:15]
	v_cvt_f32_f16_e32 v0, v0
	v_mul_f64 v[23:24], v[23:24], s[14:15]
	v_add_co_ci_u32_e32 v37, vcc_lo, s16, v14, vcc_lo
	v_cvt_f32_f16_e32 v8, v8
	v_cvt_f64_f32_e32 v[40:41], v0
	v_add_co_u32 v38, vcc_lo, v36, s17
	v_mul_f64 v[25:26], v[25:26], s[14:15]
	v_add_co_ci_u32_e32 v39, vcc_lo, s16, v37, vcc_lo
	v_cvt_f32_f16_e32 v10, v32
	v_cvt_f64_f32_e32 v[32:33], v8
	v_cvt_f32_f16_e32 v6, v6
	v_bfe_u32 v42, v18, 20, 11
	v_mul_f64 v[19:20], v[19:20], s[14:15]
	v_cvt_f64_f32_e32 v[29:30], v10
	v_and_or_b32 v0, 0x1ff, v3, v2
	v_cvt_f64_f32_e32 v[27:28], v6
	v_lshrrev_b32_e32 v2, 8, v3
	v_and_or_b32 v8, 0x1ff, v16, v15
	v_lshrrev_b32_e32 v10, 8, v16
	v_cmp_ne_u32_e32 vcc_lo, 0, v0
	v_bfe_u32 v12, v16, 20, 11
	v_lshrrev_b32_e32 v15, 16, v16
	v_and_or_b32 v16, 0x1ff, v18, v17
	v_and_or_b32 v21, 0x1ff, v22, v21
	v_cndmask_b32_e64 v0, 0, 1, vcc_lo
	v_cmp_ne_u32_e32 vcc_lo, 0, v8
	v_and_or_b32 v23, 0x1ff, v24, v23
	v_and_or_b32 v25, 0x1ff, v26, v25
	v_bfe_u32 v6, v3, 20, 11
	v_and_or_b32 v0, 0xffe, v2, v0
	v_cndmask_b32_e64 v8, 0, 1, vcc_lo
	v_cmp_ne_u32_e32 vcc_lo, 0, v16
	v_lshrrev_b32_e32 v17, 8, v18
	v_sub_nc_u32_e32 v49, 0x3f1, v6
	v_add_nc_u32_e32 v6, 0xfffffc10, v6
	v_and_or_b32 v8, 0xffe, v10, v8
	v_cndmask_b32_e64 v16, 0, 1, vcc_lo
	v_cmp_ne_u32_e32 vcc_lo, 0, v21
	v_lshrrev_b32_e32 v43, 8, v22
	v_sub_nc_u32_e32 v50, 0x3f1, v12
	v_add_nc_u32_e32 v12, 0xfffffc10, v12
	v_and_or_b32 v16, 0xffe, v17, v16
	v_cndmask_b32_e64 v21, 0, 1, vcc_lo
	v_cmp_ne_u32_e32 vcc_lo, 0, v23
	v_or_b32_e32 v57, 0x1000, v0
	v_lshl_or_b32 v58, v6, 12, v0
	v_mul_f64 v[27:28], v[27:28], s[14:15]
	v_bfe_u32 v44, v22, 20, 11
	v_cndmask_b32_e64 v23, 0, 1, vcc_lo
	v_cmp_ne_u32_e32 vcc_lo, 0, v25
	v_lshrrev_b32_e32 v45, 8, v24
	v_sub_nc_u32_e32 v51, 0x3f1, v42
	v_add_nc_u32_e32 v42, 0xfffffc10, v42
	v_and_or_b32 v21, 0xffe, v43, v21
	v_cndmask_b32_e64 v25, 0, 1, vcc_lo
	v_cmp_ne_u32_e32 vcc_lo, 0, v0
	v_or_b32_e32 v59, 0x1000, v8
	v_lshl_or_b32 v60, v12, 12, v8
	v_mul_f64 v[29:30], v[29:30], s[14:15]
	v_bfe_u32 v46, v24, 20, 11
	;; [unrolled: 12-line block ×3, first 2 shown]
	v_cndmask_b32_e64 v16, 0, 1, vcc_lo
	v_cmp_ne_u32_e32 vcc_lo, 0, v21
	v_sub_nc_u32_e32 v53, 0x3f1, v46
	v_add_nc_u32_e32 v46, 0xfffffc10, v46
	v_and_or_b32 v25, 0xffe, v47, v25
	v_or_b32_e32 v63, 0x1000, v21
	v_lshl_or_b32 v64, v44, 12, v21
	v_cndmask_b32_e64 v21, 0, 1, vcc_lo
	v_cmp_ne_u32_e32 vcc_lo, 0, v23
	v_sub_nc_u32_e32 v54, 0x3f1, v48
	v_add_nc_u32_e32 v48, 0xfffffc10, v48
	v_and_or_b32 v19, 0x1ff, v20, v19
	v_or_b32_e32 v65, 0x1000, v23
	v_lshl_or_b32 v66, v46, 12, v23
	v_cndmask_b32_e64 v23, 0, 1, vcc_lo
	v_cmp_ne_u32_e32 vcc_lo, 0, v25
	v_and_or_b32 v27, 0x1ff, v28, v27
	v_or_b32_e32 v67, 0x1000, v25
	v_lshl_or_b32 v68, v48, 12, v25
	v_and_or_b32 v29, 0x1ff, v30, v29
	v_cndmask_b32_e64 v25, 0, 1, vcc_lo
	v_cmp_ne_u32_e32 vcc_lo, 0, v19
	v_med3_i32 v2, v49, 0, 13
	v_lshrrev_b32_e32 v49, 8, v20
	v_and_or_b32 v32, 0x1ff, v33, v32
	v_med3_i32 v10, v50, 0, 13
	v_cndmask_b32_e64 v19, 0, 1, vcc_lo
	v_cmp_ne_u32_e32 vcc_lo, 0, v27
	v_med3_i32 v17, v51, 0, 13
	v_med3_i32 v43, v52, 0, 13
	v_bfe_u32 v50, v20, 20, 11
	v_lshrrev_b32_e32 v51, 8, v28
	v_cndmask_b32_e64 v27, 0, 1, vcc_lo
	v_cmp_ne_u32_e32 vcc_lo, 0, v29
	v_bfe_u32 v52, v28, 20, 11
	v_and_or_b32 v19, 0xffe, v49, v19
	v_med3_i32 v45, v53, 0, 13
	v_med3_i32 v47, v54, 0, 13
	v_cndmask_b32_e64 v29, 0, 1, vcc_lo
	v_cmp_ne_u32_e32 vcc_lo, 0, v32
	v_lshrrev_b32_e32 v53, 8, v30
	v_bfe_u32 v54, v30, 20, 11
	v_bfe_u32 v56, v33, 20, 11
	v_sub_nc_u32_e32 v69, 0x3f1, v50
	v_add_nc_u32_e32 v50, 0xfffffc10, v50
	v_sub_nc_u32_e32 v70, 0x3f1, v52
	v_cndmask_b32_e64 v32, 0, 1, vcc_lo
	v_and_or_b32 v27, 0xffe, v51, v27
	v_cmp_ne_u32_e32 vcc_lo, 0, v19
	v_lshrrev_b32_e32 v55, 8, v33
	v_add_nc_u32_e32 v52, 0xfffffc10, v52
	v_sub_nc_u32_e32 v71, 0x3f1, v54
	v_sub_nc_u32_e32 v72, 0x3f1, v56
	v_lshrrev_b32_e32 v73, v2, v57
	v_med3_i32 v49, v69, 0, 13
	v_med3_i32 v51, v70, 0, 13
	v_and_or_b32 v29, 0xffe, v53, v29
	v_or_b32_e32 v69, 0x1000, v19
	v_lshl_or_b32 v70, v50, 12, v19
	v_cndmask_b32_e64 v19, 0, 1, vcc_lo
	v_cmp_ne_u32_e32 vcc_lo, 0, v27
	v_add_nc_u32_e32 v54, 0xfffffc10, v54
	v_lshrrev_b32_e32 v74, v10, v59
	v_med3_i32 v53, v71, 0, 13
	v_and_or_b32 v32, 0xffe, v55, v32
	v_med3_i32 v55, v72, 0, 13
	v_lshlrev_b32_e32 v2, v2, v73
	v_or_b32_e32 v71, 0x1000, v27
	v_lshl_or_b32 v72, v52, 12, v27
	v_cndmask_b32_e64 v27, 0, 1, vcc_lo
	v_cmp_ne_u32_e32 vcc_lo, 0, v29
	v_lshrrev_b32_e32 v75, v17, v61
	v_lshlrev_b32_e32 v10, v10, v74
	v_or_b32_e32 v79, 0x1000, v29
	v_lshl_or_b32 v80, v54, 12, v29
	v_cndmask_b32_e64 v29, 0, 1, vcc_lo
	v_cmp_ne_u32_e32 vcc_lo, v2, v57
	v_lshrrev_b32_e32 v76, v43, v63
	v_lshlrev_b32_e32 v17, v17, v75
	v_lshrrev_b32_e32 v77, v45, v65
	v_lshrrev_b32_e32 v78, v47, v67
	v_cndmask_b32_e64 v2, 0, 1, vcc_lo
	v_cmp_ne_u32_e32 vcc_lo, v10, v59
	v_lshlrev_b32_e32 v43, v43, v76
	v_lshlrev_b32_e32 v45, v45, v77
	;; [unrolled: 1-line block ×3, first 2 shown]
	v_or_b32_e32 v2, v73, v2
	v_cndmask_b32_e64 v10, 0, 1, vcc_lo
	v_cmp_ne_u32_e32 vcc_lo, v17, v61
	v_lshrrev_b32_e32 v57, v49, v69
	v_lshrrev_b32_e32 v59, v51, v71
	v_or_b32_e32 v81, 0x1000, v32
	v_or_b32_e32 v10, v74, v10
	v_cndmask_b32_e64 v17, 0, 1, vcc_lo
	v_cmp_ne_u32_e32 vcc_lo, v43, v63
	v_lshlrev_b32_e32 v49, v49, v57
	v_lshrrev_b32_e32 v61, v53, v79
	v_lshlrev_b32_e32 v51, v51, v59
	v_or_b32_e32 v17, v75, v17
	v_cndmask_b32_e64 v43, 0, 1, vcc_lo
	v_cmp_ne_u32_e32 vcc_lo, v45, v65
	v_lshrrev_b32_e32 v63, v55, v81
	v_lshlrev_b32_e32 v53, v53, v61
	v_cmp_gt_i32_e64 s11, 1, v50
	v_or_b32_e32 v43, v76, v43
	v_cndmask_b32_e64 v45, 0, 1, vcc_lo
	v_cmp_ne_u32_e32 vcc_lo, v47, v67
	v_lshlrev_b32_e32 v55, v55, v63
	v_lshl_or_b32 v0, v0, 9, 0x7c00
	v_lshl_or_b32 v8, v8, 9, 0x7c00
	v_or_b32_e32 v45, v77, v45
	v_cndmask_b32_e64 v47, 0, 1, vcc_lo
	v_cmp_gt_i32_e32 vcc_lo, 1, v6
	v_lshl_or_b32 v16, v16, 9, 0x7c00
	v_lshl_or_b32 v21, v21, 9, 0x7c00
	v_cvt_f64_f32_e32 v[34:35], v34
	v_or_b32_e32 v47, v78, v47
	v_cndmask_b32_e32 v2, v58, v2, vcc_lo
	v_cmp_gt_i32_e32 vcc_lo, 1, v12
	v_lshl_or_b32 v23, v23, 9, 0x7c00
	v_lshl_or_b32 v25, v25, 9, 0x7c00
	v_lshrrev_b32_e32 v3, 16, v3
	v_and_b32_e32 v58, 7, v2
	v_cndmask_b32_e32 v10, v60, v10, vcc_lo
	v_cmp_gt_i32_e32 vcc_lo, 1, v42
	v_lshrrev_b32_e32 v2, 2, v2
	v_lshrrev_b32_e32 v18, 16, v18
	v_cmp_eq_u32_e64 s0, 3, v58
	v_and_b32_e32 v60, 7, v10
	v_cndmask_b32_e32 v17, v62, v17, vcc_lo
	v_cmp_gt_i32_e32 vcc_lo, 1, v44
	v_lshrrev_b32_e32 v10, 2, v10
	v_lshrrev_b32_e32 v22, 16, v22
	v_cmp_lt_i32_e64 s1, 5, v60
	v_and_b32_e32 v62, 7, v17
	v_cndmask_b32_e32 v43, v64, v43, vcc_lo
	v_cmp_gt_i32_e32 vcc_lo, 1, v46
	v_cmp_eq_u32_e64 s2, 3, v60
	v_lshrrev_b32_e32 v17, 2, v17
	v_cmp_lt_i32_e64 s3, 5, v62
	v_and_b32_e32 v64, 7, v43
	v_cndmask_b32_e32 v45, v66, v45, vcc_lo
	v_cmp_gt_i32_e32 vcc_lo, 1, v48
	v_cmp_eq_u32_e64 s4, 3, v62
	v_lshrrev_b32_e32 v43, 2, v43
	v_cmp_lt_i32_e64 s5, 5, v64
	v_and_b32_e32 v65, 7, v45
	v_cndmask_b32_e32 v47, v68, v47, vcc_lo
	v_cmp_ne_u32_e32 vcc_lo, v49, v69
	v_cmp_eq_u32_e64 s6, 3, v64
	v_lshrrev_b32_e32 v45, 2, v45
	v_cmp_lt_i32_e64 s7, 5, v65
	v_and_b32_e32 v66, 7, v47
	v_cndmask_b32_e64 v49, 0, 1, vcc_lo
	v_cmp_ne_u32_e32 vcc_lo, v51, v71
	v_cmp_eq_u32_e64 s8, 3, v65
	v_lshrrev_b32_e32 v47, 2, v47
	v_cmp_lt_i32_e64 s9, 5, v66
	v_cmp_eq_u32_e64 s10, 3, v66
	v_cndmask_b32_e64 v51, 0, 1, vcc_lo
	v_cmp_ne_u32_e32 vcc_lo, v53, v79
	v_or_b32_e32 v49, v57, v49
	v_lshrrev_b32_e32 v24, 16, v24
	v_lshrrev_b32_e32 v26, 16, v26
	v_or_b32_e32 v51, v59, v51
	v_cndmask_b32_e64 v53, 0, 1, vcc_lo
	v_cmp_ne_u32_e32 vcc_lo, v55, v81
	v_cndmask_b32_e64 v49, v70, v49, s11
	v_cmp_gt_i32_e64 s11, 1, v52
	v_mul_f64 v[34:35], v[34:35], s[14:15]
	v_or_b32_e32 v53, v61, v53
	v_cndmask_b32_e64 v55, 0, 1, vcc_lo
	v_cmp_lt_i32_e32 vcc_lo, 5, v58
	v_cndmask_b32_e64 v51, v72, v51, s11
	v_cmp_gt_i32_e64 s11, 1, v54
	v_and_b32_e32 v57, 7, v49
	v_lshrrev_b32_e32 v49, 2, v49
	s_or_b32 vcc_lo, s0, vcc_lo
	v_and_b32_e32 v58, 7, v51
	v_add_co_ci_u32_e32 v2, vcc_lo, 0, v2, vcc_lo
	s_or_b32 vcc_lo, s2, s1
	v_cndmask_b32_e64 v53, v80, v53, s11
	v_add_co_ci_u32_e32 v10, vcc_lo, 0, v10, vcc_lo
	s_or_b32 vcc_lo, s4, s3
	v_cmp_eq_u32_e64 s0, 3, v57
	v_add_co_ci_u32_e32 v17, vcc_lo, 0, v17, vcc_lo
	s_or_b32 vcc_lo, s6, s5
	v_cmp_eq_u32_e64 s5, 0x40f, v6
	v_add_co_ci_u32_e32 v43, vcc_lo, 0, v43, vcc_lo
	s_or_b32 vcc_lo, s8, s7
	v_and_b32_e32 v59, 7, v53
	v_add_co_ci_u32_e32 v45, vcc_lo, 0, v45, vcc_lo
	s_or_b32 vcc_lo, s10, s9
	v_cmp_lt_i32_e64 s1, 5, v58
	v_add_co_ci_u32_e32 v47, vcc_lo, 0, v47, vcc_lo
	v_cmp_gt_i32_e32 vcc_lo, 31, v6
	v_cmp_eq_u32_e64 s2, 3, v58
	v_lshrrev_b32_e32 v51, 2, v51
	v_cmp_lt_i32_e64 s3, 5, v59
	v_cmp_eq_u32_e64 s4, 3, v59
	v_cndmask_b32_e32 v2, 0x7c00, v2, vcc_lo
	v_cmp_gt_i32_e32 vcc_lo, 31, v12
	v_lshrrev_b32_e32 v53, 2, v53
	v_lshl_or_b32 v19, v19, 9, 0x7c00
	v_add_nc_u32_e32 v56, 0xfffffc10, v56
	v_cndmask_b32_e64 v0, v2, v0, s5
	v_cndmask_b32_e32 v10, 0x7c00, v10, vcc_lo
	v_cmp_gt_i32_e32 vcc_lo, 31, v42
	v_cmp_eq_u32_e64 s5, 0x40f, v12
	v_lshl_or_b32 v27, v27, 9, 0x7c00
	v_and_or_b32 v0, 0x8000, v3, v0
	v_lshl_or_b32 v82, v56, 12, v32
	v_cndmask_b32_e32 v17, 0x7c00, v17, vcc_lo
	v_cmp_gt_i32_e32 vcc_lo, 31, v44
	v_cndmask_b32_e64 v2, v10, v8, s5
	v_cmp_eq_u32_e64 s5, 0x40f, v42
	v_and_b32_e32 v0, 0xffff, v0
	v_or_b32_e32 v55, v63, v55
	v_cndmask_b32_e32 v43, 0x7c00, v43, vcc_lo
	v_cmp_gt_i32_e32 vcc_lo, 31, v46
	v_cndmask_b32_e64 v6, v17, v16, s5
	v_cmp_eq_u32_e64 s5, 0x40f, v44
	v_and_or_b32 v2, 0x8000, v15, v2
	v_lshl_or_b32 v29, v29, 9, 0x7c00
	v_cndmask_b32_e32 v45, 0x7c00, v45, vcc_lo
	v_cmp_gt_i32_e32 vcc_lo, 31, v48
	v_cndmask_b32_e64 v8, v43, v21, s5
	v_cmp_eq_u32_e64 s5, 0x40f, v46
	v_and_or_b32 v3, 0x8000, v18, v6
	v_lshl_or_b32 v0, v2, 16, v0
	v_cndmask_b32_e32 v47, 0x7c00, v47, vcc_lo
	v_cmp_lt_i32_e32 vcc_lo, 5, v57
	v_cndmask_b32_e64 v10, v45, v23, s5
	v_cmp_eq_u32_e64 s5, 0x40f, v48
	v_and_or_b32 v6, 0x8000, v22, v8
	v_and_b32_e32 v3, 0xffff, v3
	s_or_b32 vcc_lo, s0, vcc_lo
	v_and_or_b32 v8, 0x8000, v24, v10
	v_add_co_ci_u32_e32 v16, vcc_lo, 0, v49, vcc_lo
	s_or_b32 vcc_lo, s2, s1
	v_cndmask_b32_e64 v12, v47, v25, s5
	v_add_co_ci_u32_e32 v17, vcc_lo, 0, v51, vcc_lo
	s_or_b32 vcc_lo, s4, s3
	v_and_b32_e32 v8, 0xffff, v8
	v_add_co_ci_u32_e32 v21, vcc_lo, 0, v53, vcc_lo
	v_cmp_gt_i32_e32 vcc_lo, 31, v50
	v_and_or_b32 v10, 0x8000, v26, v12
	v_lshl_or_b32 v2, v6, 16, v3
	v_lshrrev_b32_e32 v20, 16, v20
	v_lshrrev_b32_e32 v28, 16, v28
	v_cndmask_b32_e32 v12, 0x7c00, v16, vcc_lo
	v_cmp_gt_i32_e32 vcc_lo, 31, v52
	v_lshl_or_b32 v3, v10, 16, v8
	global_store_dword v[13:14], v0, off
	global_store_dword v[36:37], v2, off
	;; [unrolled: 1-line block ×3, first 2 shown]
	v_cndmask_b32_e32 v15, 0x7c00, v17, vcc_lo
	v_cmp_gt_i32_e32 vcc_lo, 31, v54
	v_and_or_b32 v2, 0x1ff, v35, v34
	v_bfe_u32 v13, v35, 20, 11
	s_waitcnt vmcnt(4)
	v_mul_f16_sdwa v26, v1, v11 dst_sel:DWORD dst_unused:UNUSED_PAD src0_sel:DWORD src1_sel:WORD_1
	v_cndmask_b32_e32 v16, 0x7c00, v21, vcc_lo
	v_cmp_eq_u32_e32 vcc_lo, 0x40f, v50
	v_add_nc_u32_e32 v21, 0xfffffc10, v13
	v_cndmask_b32_e32 v12, v12, v19, vcc_lo
	v_cmp_eq_u32_e32 vcc_lo, 0x40f, v52
	v_lshrrev_b32_e32 v19, 16, v1
	v_and_or_b32 v6, 0x8000, v20, v12
	v_cndmask_b32_e32 v15, v15, v27, vcc_lo
	v_cmp_gt_i32_e32 vcc_lo, 1, v56
	v_lshrrev_b32_e32 v12, 8, v35
	v_mul_f16_sdwa v20, v19, v11 dst_sel:DWORD dst_unused:UNUSED_PAD src0_sel:DWORD src1_sel:WORD_1
	v_and_b32_e32 v6, 0xffff, v6
	v_and_or_b32 v8, 0x8000, v28, v15
	v_cndmask_b32_e32 v0, v82, v55, vcc_lo
	v_cmp_eq_u32_e32 vcc_lo, 0x40f, v54
	v_fmac_f16_e32 v20, v1, v11
	v_lshl_or_b32 v6, v8, 16, v6
	v_and_b32_e32 v3, 7, v0
	v_cndmask_b32_e32 v10, v16, v29, vcc_lo
	v_cmp_ne_u32_e32 vcc_lo, 0, v2
	v_lshrrev_b32_e32 v0, 2, v0
	v_lshrrev_b32_e32 v16, 16, v30
	v_cmp_eq_u32_e64 s0, 3, v3
	v_cndmask_b32_e64 v2, 0, 1, vcc_lo
	v_cmp_lt_i32_e32 vcc_lo, 5, v3
	v_and_or_b32 v10, 0x8000, v16, v10
	v_and_or_b32 v18, 0xffe, v12, v2
	v_mul_f64 v[2:3], v[40:41], s[14:15]
	v_sub_nc_u32_e32 v12, 0x3f1, v13
	s_or_b32 vcc_lo, s0, vcc_lo
	v_and_b32_e32 v10, 0xffff, v10
	v_add_co_ci_u32_e32 v0, vcc_lo, 0, v0, vcc_lo
	v_cmp_ne_u32_e32 vcc_lo, 0, v32
	v_or_b32_e32 v15, 0x1000, v18
	v_med3_i32 v12, v12, 0, 13
	v_cndmask_b32_e64 v14, 0, 1, vcc_lo
	v_cmp_gt_i32_e32 vcc_lo, 31, v56
	v_lshrrev_b32_e32 v17, v12, v15
	v_lshl_or_b32 v14, v14, 9, 0x7c00
	v_cndmask_b32_e32 v0, 0x7c00, v0, vcc_lo
	v_cmp_eq_u32_e32 vcc_lo, 0x40f, v56
	v_lshlrev_b32_e32 v8, v12, v17
	v_cvt_f32_f16_e32 v12, v20
	v_and_or_b32 v2, 0x1ff, v3, v2
	v_cndmask_b32_e32 v0, v0, v14, vcc_lo
	v_cmp_ne_u32_e32 vcc_lo, v8, v15
	v_lshrrev_b32_e32 v14, 16, v33
	v_cvt_f64_f32_e32 v[12:13], v12
	v_bfe_u32 v20, v3, 20, 11
	v_lshl_or_b32 v15, v21, 12, v18
	v_cndmask_b32_e64 v8, 0, 1, vcc_lo
	v_cmp_ne_u32_e32 vcc_lo, 0, v2
	v_and_or_b32 v0, 0x8000, v14, v0
	v_lshrrev_b32_e32 v14, 8, v3
	v_or_b32_e32 v8, v17, v8
	v_cndmask_b32_e64 v2, 0, 1, vcc_lo
	v_cmp_gt_i32_e32 vcc_lo, 1, v21
	v_lshl_or_b32 v24, v0, 16, v10
	v_and_or_b32 v2, 0xffe, v14, v2
	v_sub_nc_u32_e32 v14, 0x3f1, v20
	v_cndmask_b32_e32 v8, v15, v8, vcc_lo
	v_or_b32_e32 v22, 0x1000, v2
	v_med3_i32 v23, v14, 0, 13
	v_add_co_u32 v14, vcc_lo, v38, s17
	v_add_co_ci_u32_e32 v15, vcc_lo, s16, v39, vcc_lo
	v_lshrrev_b32_e32 v25, v23, v22
	v_and_b32_e32 v10, 7, v8
	v_mul_f64 v[0:1], v[12:13], s[14:15]
	v_add_co_u32 v16, vcc_lo, v14, s17
	v_lshlrev_b32_e32 v12, v23, v25
	v_add_co_ci_u32_e32 v17, vcc_lo, s16, v15, vcc_lo
	v_cmp_lt_i32_e32 vcc_lo, 5, v10
	v_cmp_eq_u32_e64 s0, 3, v10
	v_fma_f16 v10, v11, v19, -v26
	v_lshrrev_b32_e32 v8, 2, v8
	v_cmp_ne_u32_e64 s1, v12, v22
	v_add_nc_u32_e32 v19, 0xfffffc10, v20
	s_or_b32 vcc_lo, s0, vcc_lo
	v_cvt_f32_f16_e32 v10, v10
	v_add_co_ci_u32_e32 v8, vcc_lo, 0, v8, vcc_lo
	v_cndmask_b32_e64 v11, 0, 1, s1
	v_cmp_ne_u32_e32 vcc_lo, 0, v18
	v_lshl_or_b32 v22, v19, 12, v2
	v_add_nc_u32_e32 v12, 0x1300, v31
	v_or_b32_e32 v20, v25, v11
	v_cvt_f64_f32_e32 v[10:11], v10
	v_cndmask_b32_e64 v18, 0, 1, vcc_lo
	v_cmp_gt_i32_e32 vcc_lo, 1, v19
	v_and_or_b32 v0, 0x1ff, v1, v0
	ds_read2_b32 v[12:13], v12 offset0:44 offset1:224
	v_lshrrev_b32_e32 v23, 8, v1
	v_lshl_or_b32 v18, v18, 9, 0x7c00
	v_cndmask_b32_e32 v20, v22, v20, vcc_lo
	v_cmp_gt_i32_e32 vcc_lo, 31, v21
	v_bfe_u32 v25, v1, 20, 11
	global_store_dword v[14:15], v6, off
	global_store_dword v[16:17], v24, off
	v_and_b32_e32 v22, 7, v20
	v_cndmask_b32_e32 v8, 0x7c00, v8, vcc_lo
	v_cmp_ne_u32_e32 vcc_lo, 0, v0
	v_lshrrev_b32_e32 v20, 2, v20
	v_cmp_eq_u32_e64 s0, 3, v22
	v_cndmask_b32_e64 v0, 0, 1, vcc_lo
	v_cmp_eq_u32_e32 vcc_lo, 0x40f, v21
	v_sub_nc_u32_e32 v21, 0x3f1, v25
	v_mul_f64 v[10:11], v[10:11], s[14:15]
	v_and_or_b32 v0, 0xffe, v23, v0
	v_cndmask_b32_e32 v8, v8, v18, vcc_lo
	v_cmp_lt_i32_e32 vcc_lo, 5, v22
	v_med3_i32 v21, v21, 0, 13
	s_waitcnt lgkmcnt(0)
	v_lshrrev_b32_e32 v23, 16, v12
	v_or_b32_e32 v22, 0x1000, v0
	v_lshrrev_b32_e32 v18, 16, v35
	s_or_b32 vcc_lo, s0, vcc_lo
	v_add_co_ci_u32_e32 v20, vcc_lo, 0, v20, vcc_lo
	v_cmp_ne_u32_e32 vcc_lo, 0, v2
	v_lshrrev_b32_e32 v27, v21, v22
	s_waitcnt vmcnt(3)
	v_mul_f16_sdwa v26, v23, v9 dst_sel:DWORD dst_unused:UNUSED_PAD src0_sel:DWORD src1_sel:WORD_1
	v_and_or_b32 v8, 0x8000, v18, v8
	v_cndmask_b32_e64 v2, 0, 1, vcc_lo
	v_cmp_gt_i32_e32 vcc_lo, 31, v19
	v_lshlrev_b32_e32 v18, v21, v27
	v_fmac_f16_e32 v26, v12, v9
	v_and_or_b32 v10, 0x1ff, v11, v10
	v_lshl_or_b32 v2, v2, 9, 0x7c00
	v_cndmask_b32_e32 v20, 0x7c00, v20, vcc_lo
	v_cmp_eq_u32_e32 vcc_lo, 0x40f, v19
	v_cvt_f32_f16_e32 v21, v26
	v_and_b32_e32 v8, 0xffff, v8
	v_mul_f16_sdwa v12, v12, v9 dst_sel:DWORD dst_unused:UNUSED_PAD src0_sel:DWORD src1_sel:WORD_1
	v_cndmask_b32_e32 v19, v20, v2, vcc_lo
	v_cmp_ne_u32_e32 vcc_lo, v18, v22
	v_lshrrev_b32_e32 v20, 16, v3
	v_cvt_f64_f32_e32 v[2:3], v21
	v_add_nc_u32_e32 v21, 0xfffffc10, v25
	v_lshrrev_b32_e32 v22, 8, v11
	v_cndmask_b32_e64 v18, 0, 1, vcc_lo
	v_cmp_ne_u32_e32 vcc_lo, 0, v10
	v_bfe_u32 v25, v11, 20, 11
	v_and_or_b32 v19, 0x8000, v20, v19
	v_lshl_or_b32 v20, v21, 12, v0
	v_or_b32_e32 v18, v27, v18
	v_cndmask_b32_e64 v10, 0, 1, vcc_lo
	v_cmp_gt_i32_e32 vcc_lo, 1, v21
	v_lshl_or_b32 v6, v19, 16, v8
	v_fma_f16 v9, v9, v23, -v12
	v_add_nc_u32_e32 v12, 0xfffffc10, v25
	v_and_or_b32 v10, 0xffe, v22, v10
	v_sub_nc_u32_e32 v22, 0x3f1, v25
	v_cndmask_b32_e32 v18, v20, v18, vcc_lo
	v_add_co_u32 v14, vcc_lo, v16, s17
	v_or_b32_e32 v20, 0x1000, v10
	v_med3_i32 v22, v22, 0, 13
	v_and_b32_e32 v8, 7, v18
	v_mul_f64 v[2:3], v[2:3], s[14:15]
	v_add_co_ci_u32_e32 v15, vcc_lo, s16, v17, vcc_lo
	v_lshrrev_b32_e32 v19, v22, v20
	v_cmp_lt_i32_e32 vcc_lo, 5, v8
	v_cmp_eq_u32_e64 s0, 3, v8
	v_lshrrev_b32_e32 v8, 2, v18
	v_lshl_or_b32 v18, v12, 12, v10
	v_lshlrev_b32_e32 v16, v22, v19
	v_lshrrev_b32_e32 v23, 16, v1
	s_or_b32 vcc_lo, s0, vcc_lo
	v_lshrrev_b32_e32 v11, 16, v11
	v_add_co_ci_u32_e32 v17, vcc_lo, 0, v8, vcc_lo
	v_cmp_ne_u32_e64 s1, v16, v20
	v_cvt_f32_f16_e32 v8, v9
	v_cmp_ne_u32_e32 vcc_lo, 0, v0
	global_store_dword v[14:15], v6, off
	v_cndmask_b32_e64 v16, 0, 1, s1
	v_cvt_f64_f32_e32 v[8:9], v8
	v_cndmask_b32_e64 v0, 0, 1, vcc_lo
	v_cmp_gt_i32_e32 vcc_lo, 1, v12
	v_and_or_b32 v2, 0x1ff, v3, v2
	v_or_b32_e32 v16, v19, v16
	v_lshrrev_b32_e32 v19, 8, v3
	v_lshl_or_b32 v0, v0, 9, 0x7c00
	v_bfe_u32 v20, v3, 20, 11
	v_lshrrev_b32_e32 v3, 16, v3
	v_cndmask_b32_e32 v16, v18, v16, vcc_lo
	v_cmp_gt_i32_e32 vcc_lo, 31, v21
	v_and_b32_e32 v18, 7, v16
	v_cndmask_b32_e32 v17, 0x7c00, v17, vcc_lo
	v_cmp_ne_u32_e32 vcc_lo, 0, v2
	v_lshrrev_b32_e32 v16, 2, v16
	v_cmp_eq_u32_e64 s0, 3, v18
	v_cndmask_b32_e64 v2, 0, 1, vcc_lo
	v_cmp_eq_u32_e32 vcc_lo, 0x40f, v21
	v_mul_f64 v[8:9], v[8:9], s[14:15]
	v_and_or_b32 v2, 0xffe, v19, v2
	v_cndmask_b32_e32 v17, v17, v0, vcc_lo
	v_cmp_lt_i32_e32 vcc_lo, 5, v18
	v_lshrrev_b32_e32 v18, 16, v13
	v_sub_nc_u32_e32 v0, 0x3f1, v20
	v_or_b32_e32 v19, 0x1000, v2
	v_and_or_b32 v17, 0x8000, v23, v17
	s_or_b32 vcc_lo, s0, vcc_lo
	s_waitcnt vmcnt(2)
	v_mul_f16_sdwa v21, v18, v7 dst_sel:DWORD dst_unused:UNUSED_PAD src0_sel:DWORD src1_sel:WORD_1
	v_add_co_ci_u32_e32 v16, vcc_lo, 0, v16, vcc_lo
	v_med3_i32 v0, v0, 0, 13
	v_cmp_ne_u32_e32 vcc_lo, 0, v10
	v_fmac_f16_e32 v21, v13, v7
	v_and_b32_e32 v17, 0xffff, v17
	v_mul_f16_sdwa v13, v13, v7 dst_sel:DWORD dst_unused:UNUSED_PAD src0_sel:DWORD src1_sel:WORD_1
	v_lshrrev_b32_e32 v22, v0, v19
	v_cndmask_b32_e64 v10, 0, 1, vcc_lo
	v_cmp_gt_i32_e32 vcc_lo, 31, v12
	v_cvt_f32_f16_e32 v1, v21
	v_and_or_b32 v8, 0x1ff, v9, v8
	v_lshlrev_b32_e32 v21, v0, v22
	v_lshl_or_b32 v10, v10, 9, 0x7c00
	v_cndmask_b32_e32 v16, 0x7c00, v16, vcc_lo
	v_cmp_eq_u32_e32 vcc_lo, 0x40f, v12
	v_cvt_f64_f32_e32 v[0:1], v1
	v_fma_f16 v7, v7, v18, -v13
	v_add_nc_u32_e32 v13, 0x1900, v31
	v_cndmask_b32_e32 v10, v16, v10, vcc_lo
	v_cmp_ne_u32_e32 vcc_lo, v21, v19
	v_add_nc_u32_e32 v16, 0xfffffc10, v20
	v_lshrrev_b32_e32 v19, 8, v9
	v_bfe_u32 v20, v9, 20, 11
	v_and_or_b32 v10, 0x8000, v11, v10
	v_cndmask_b32_e64 v12, 0, 1, vcc_lo
	v_cmp_ne_u32_e32 vcc_lo, 0, v8
	v_lshrrev_b32_e32 v9, 16, v9
	v_lshl_or_b32 v17, v10, 16, v17
	v_or_b32_e32 v11, v22, v12
	v_lshl_or_b32 v12, v16, 12, v2
	v_cndmask_b32_e64 v8, 0, 1, vcc_lo
	v_cmp_gt_i32_e32 vcc_lo, 1, v16
	v_and_or_b32 v8, 0xffe, v19, v8
	v_cndmask_b32_e32 v12, v12, v11, vcc_lo
	v_sub_nc_u32_e32 v11, 0x3f1, v20
	v_mul_f64 v[0:1], v[0:1], s[14:15]
	v_add_co_u32 v10, vcc_lo, v14, s17
	v_or_b32_e32 v19, 0x1000, v8
	v_med3_i32 v21, v11, 0, 13
	v_and_b32_e32 v6, 7, v12
	v_add_co_ci_u32_e32 v11, vcc_lo, s16, v15, vcc_lo
	v_cvt_f32_f16_e32 v15, v7
	v_lshrrev_b32_e32 v14, v21, v19
	v_cmp_lt_i32_e32 vcc_lo, 5, v6
	v_cmp_eq_u32_e64 s0, 3, v6
	v_lshrrev_b32_e32 v6, 2, v12
	v_lshlrev_b32_e32 v12, v21, v14
	s_or_b32 vcc_lo, s0, vcc_lo
	v_add_co_ci_u32_e32 v18, vcc_lo, 0, v6, vcc_lo
	v_cmp_ne_u32_e32 vcc_lo, v12, v19
	ds_read2_b32 v[6:7], v13 offset0:20 offset1:200
	v_and_or_b32 v0, 0x1ff, v1, v0
	v_cvt_f64_f32_e32 v[12:13], v15
	v_add_nc_u32_e32 v15, 0xfffffc10, v20
	v_cndmask_b32_e64 v19, 0, 1, vcc_lo
	v_cmp_gt_i32_e32 vcc_lo, 31, v16
	v_lshrrev_b32_e32 v20, 8, v1
	v_bfe_u32 v21, v1, 20, 11
	v_or_b32_e32 v14, v14, v19
	v_cndmask_b32_e32 v18, 0x7c00, v18, vcc_lo
	v_cmp_ne_u32_e32 vcc_lo, 0, v0
	v_lshl_or_b32 v19, v15, 12, v8
	v_cndmask_b32_e64 v0, 0, 1, vcc_lo
	v_cmp_ne_u32_e32 vcc_lo, 0, v2
	v_and_or_b32 v0, 0xffe, v20, v0
	v_cndmask_b32_e64 v2, 0, 1, vcc_lo
	v_cmp_gt_i32_e32 vcc_lo, 1, v15
	s_waitcnt lgkmcnt(0)
	v_lshrrev_b32_e32 v20, 16, v6
	v_mul_f64 v[12:13], v[12:13], s[14:15]
	v_or_b32_e32 v23, 0x1000, v0
	v_lshl_or_b32 v2, v2, 9, 0x7c00
	v_cndmask_b32_e32 v14, v19, v14, vcc_lo
	v_sub_nc_u32_e32 v19, 0x3f1, v21
	v_cmp_eq_u32_e32 vcc_lo, 0x40f, v16
	s_waitcnt vmcnt(1)
	v_mul_f16_sdwa v24, v20, v4 dst_sel:DWORD dst_unused:UNUSED_PAD src0_sel:DWORD src1_sel:WORD_1
	v_add_nc_u32_e32 v21, 0xfffffc10, v21
	v_and_b32_e32 v22, 7, v14
	v_med3_i32 v19, v19, 0, 13
	v_cndmask_b32_e32 v2, v18, v2, vcc_lo
	v_fmac_f16_e32 v24, v6, v4
	v_mul_f16_sdwa v6, v6, v4 dst_sel:DWORD dst_unused:UNUSED_PAD src0_sel:DWORD src1_sel:WORD_1
	v_cmp_lt_i32_e32 vcc_lo, 5, v22
	v_lshrrev_b32_e32 v16, v19, v23
	v_cmp_eq_u32_e64 s0, 3, v22
	v_and_or_b32 v18, 0x8000, v3, v2
	v_lshrrev_b32_e32 v2, 2, v14
	v_cvt_f32_f16_e32 v14, v24
	v_lshlrev_b32_e32 v3, v19, v16
	s_or_b32 vcc_lo, s0, vcc_lo
	v_fma_f16 v4, v4, v20, -v6
	v_add_co_ci_u32_e32 v19, vcc_lo, 0, v2, vcc_lo
	v_cmp_ne_u32_e32 vcc_lo, v3, v23
	v_cvt_f64_f32_e32 v[2:3], v14
	v_and_or_b32 v12, 0x1ff, v13, v12
	v_cvt_f32_f16_e32 v4, v4
	v_lshrrev_b32_e32 v20, 16, v7
	v_cndmask_b32_e64 v22, 0, 1, vcc_lo
	v_cmp_ne_u32_e32 vcc_lo, 0, v8
	v_or_b32_e32 v14, v16, v22
	v_cndmask_b32_e64 v8, 0, 1, vcc_lo
	v_cmp_gt_i32_e32 vcc_lo, 31, v15
	v_lshl_or_b32 v16, v21, 12, v0
	v_bfe_u32 v22, v13, 20, 11
	v_lshl_or_b32 v8, v8, 9, 0x7c00
	v_cndmask_b32_e32 v19, 0x7c00, v19, vcc_lo
	v_cmp_gt_i32_e32 vcc_lo, 1, v21
	v_cndmask_b32_e32 v14, v16, v14, vcc_lo
	v_cmp_ne_u32_e32 vcc_lo, 0, v12
	v_lshrrev_b32_e32 v16, 8, v13
	v_mul_f64 v[2:3], v[2:3], s[14:15]
	v_lshrrev_b32_e32 v13, 16, v13
	v_and_b32_e32 v23, 7, v14
	v_cndmask_b32_e64 v12, 0, 1, vcc_lo
	v_cmp_eq_u32_e32 vcc_lo, 0x40f, v15
	v_sub_nc_u32_e32 v15, 0x3f1, v22
	v_cmp_eq_u32_e64 s0, 3, v23
	v_and_or_b32 v12, 0xffe, v16, v12
	v_cndmask_b32_e32 v8, v19, v8, vcc_lo
	v_cmp_lt_i32_e32 vcc_lo, 5, v23
	v_med3_i32 v15, v15, 0, 13
	s_waitcnt vmcnt(0)
	v_mul_f16_sdwa v23, v20, v5 dst_sel:DWORD dst_unused:UNUSED_PAD src0_sel:DWORD src1_sel:WORD_1
	v_or_b32_e32 v16, 0x1000, v12
	v_and_or_b32 v8, 0x8000, v9, v8
	v_lshrrev_b32_e32 v9, 2, v14
	s_or_b32 vcc_lo, s0, vcc_lo
	v_and_b32_e32 v14, 0xffff, v18
	v_lshrrev_b32_e32 v18, v15, v16
	v_fmac_f16_e32 v23, v7, v5
	v_add_co_ci_u32_e32 v9, vcc_lo, 0, v9, vcc_lo
	v_cmp_ne_u32_e32 vcc_lo, 0, v0
	v_lshl_or_b32 v19, v8, 16, v14
	v_lshlrev_b32_e32 v8, v15, v18
	v_and_or_b32 v2, 0x1ff, v3, v2
	v_lshrrev_b32_e32 v15, 8, v3
	v_cndmask_b32_e64 v0, 0, 1, vcc_lo
	v_cmp_gt_i32_e32 vcc_lo, 31, v21
	v_mul_f16_sdwa v7, v7, v5 dst_sel:DWORD dst_unused:UNUSED_PAD src0_sel:DWORD src1_sel:WORD_1
	v_lshl_or_b32 v0, v0, 9, 0x7c00
	v_cndmask_b32_e32 v9, 0x7c00, v9, vcc_lo
	v_cmp_ne_u32_e32 vcc_lo, v8, v16
	v_add_nc_u32_e32 v16, 0xfffffc10, v22
	v_fma_f16 v5, v5, v20, -v7
	v_cndmask_b32_e64 v8, 0, 1, vcc_lo
	v_cmp_eq_u32_e32 vcc_lo, 0x40f, v21
	v_lshl_or_b32 v14, v16, 12, v12
	v_cvt_f32_f16_e32 v5, v5
	v_cndmask_b32_e32 v6, v9, v0, vcc_lo
	v_cmp_ne_u32_e32 vcc_lo, 0, v2
	v_or_b32_e32 v0, v18, v8
	v_bfe_u32 v18, v3, 20, 11
	v_cvt_f64_f32_e32 v[8:9], v4
	v_lshrrev_b32_e32 v3, 16, v3
	v_cndmask_b32_e64 v2, 0, 1, vcc_lo
	v_cmp_gt_i32_e32 vcc_lo, 1, v16
	v_and_or_b32 v2, 0xffe, v15, v2
	v_cndmask_b32_e32 v4, v14, v0, vcc_lo
	v_sub_nc_u32_e32 v0, 0x3f1, v18
	v_lshrrev_b32_e32 v14, 16, v1
	v_add_nc_u32_e32 v18, 0xfffffc10, v18
	v_or_b32_e32 v21, 0x1000, v2
	v_and_b32_e32 v15, 7, v4
	v_med3_i32 v22, v0, 0, 13
	v_add_co_u32 v0, vcc_lo, v10, s17
	v_and_or_b32 v24, 0x8000, v14, v6
	v_add_co_ci_u32_e32 v1, vcc_lo, s16, v11, vcc_lo
	v_lshrrev_b32_e32 v6, v22, v21
	v_cmp_lt_i32_e32 vcc_lo, 5, v15
	v_cmp_eq_u32_e64 s0, 3, v15
	v_lshrrev_b32_e32 v4, 2, v4
	v_cvt_f32_f16_e32 v14, v23
	v_lshlrev_b32_e32 v22, v22, v6
	v_mul_f64 v[8:9], v[8:9], s[14:15]
	s_or_b32 vcc_lo, s0, vcc_lo
	v_add_co_ci_u32_e32 v4, vcc_lo, 0, v4, vcc_lo
	v_cmp_ne_u32_e32 vcc_lo, v22, v21
	v_cvt_f64_f32_e32 v[14:15], v14
	v_cndmask_b32_e64 v21, 0, 1, vcc_lo
	v_cmp_ne_u32_e32 vcc_lo, 0, v12
	v_or_b32_e32 v6, v6, v21
	v_cndmask_b32_e64 v12, 0, 1, vcc_lo
	v_cmp_gt_i32_e32 vcc_lo, 31, v16
	v_lshl_or_b32 v21, v18, 12, v2
	v_lshl_or_b32 v7, v12, 9, 0x7c00
	v_cndmask_b32_e32 v4, 0x7c00, v4, vcc_lo
	v_cmp_gt_i32_e32 vcc_lo, 1, v18
	v_and_or_b32 v8, 0x1ff, v9, v8
	v_cndmask_b32_e32 v12, v21, v6, vcc_lo
	v_cmp_eq_u32_e32 vcc_lo, 0x40f, v16
	v_and_b32_e32 v20, 7, v12
	v_cndmask_b32_e32 v16, v4, v7, vcc_lo
	v_mul_f64 v[6:7], v[14:15], s[14:15]
	v_cvt_f64_f32_e32 v[4:5], v5
	v_cmp_ne_u32_e32 vcc_lo, 0, v8
	v_lshrrev_b32_e32 v14, 8, v9
	v_bfe_u32 v15, v9, 20, 11
	v_cmp_eq_u32_e64 s0, 3, v20
	v_lshrrev_b32_e32 v12, 2, v12
	v_cndmask_b32_e64 v8, 0, 1, vcc_lo
	v_cmp_lt_i32_e32 vcc_lo, 5, v20
	v_and_or_b32 v13, 0x8000, v13, v16
	v_and_b32_e32 v16, 0xffff, v24
	v_lshrrev_b32_e32 v9, 16, v9
	v_and_or_b32 v8, 0xffe, v14, v8
	v_sub_nc_u32_e32 v14, 0x3f1, v15
	s_or_b32 vcc_lo, s0, vcc_lo
	v_lshl_or_b32 v13, v13, 16, v16
	v_add_co_ci_u32_e32 v12, vcc_lo, 0, v12, vcc_lo
	v_or_b32_e32 v16, 0x1000, v8
	v_med3_i32 v14, v14, 0, 13
	v_cmp_ne_u32_e32 vcc_lo, 0, v2
	v_add_nc_u32_e32 v15, 0xfffffc10, v15
	v_and_or_b32 v6, 0x1ff, v7, v6
	v_mul_f64 v[4:5], v[4:5], s[14:15]
	v_lshrrev_b32_e32 v20, v14, v16
	v_cndmask_b32_e64 v2, 0, 1, vcc_lo
	v_cmp_gt_i32_e32 vcc_lo, 31, v18
	v_lshrrev_b32_e32 v21, 8, v7
	v_bfe_u32 v22, v7, 20, 11
	v_lshlrev_b32_e32 v14, v14, v20
	v_lshl_or_b32 v2, v2, 9, 0x7c00
	v_cndmask_b32_e32 v12, 0x7c00, v12, vcc_lo
	v_cmp_ne_u32_e32 vcc_lo, 0, v6
	v_lshrrev_b32_e32 v7, 16, v7
	v_cndmask_b32_e64 v6, 0, 1, vcc_lo
	v_cmp_ne_u32_e32 vcc_lo, v14, v16
	v_sub_nc_u32_e32 v16, 0x3f1, v22
	v_and_or_b32 v6, 0xffe, v21, v6
	v_cndmask_b32_e64 v14, 0, 1, vcc_lo
	v_cmp_eq_u32_e32 vcc_lo, 0x40f, v18
	v_med3_i32 v16, v16, 0, 13
	v_and_or_b32 v4, 0x1ff, v5, v4
	v_or_b32_e32 v18, 0x1000, v6
	v_bfe_u32 v21, v5, 20, 11
	v_cndmask_b32_e32 v2, v12, v2, vcc_lo
	v_or_b32_e32 v12, v20, v14
	v_lshl_or_b32 v14, v15, 12, v8
	v_cmp_gt_i32_e32 vcc_lo, 1, v15
	v_lshrrev_b32_e32 v20, 8, v5
	v_and_or_b32 v2, 0x8000, v3, v2
	v_lshrrev_b32_e32 v5, 16, v5
	v_cndmask_b32_e32 v12, v14, v12, vcc_lo
	v_lshrrev_b32_e32 v14, v16, v18
	v_cmp_ne_u32_e32 vcc_lo, 0, v4
	v_and_b32_e32 v23, 7, v12
	v_lshlrev_b32_e32 v16, v16, v14
	v_cndmask_b32_e64 v4, 0, 1, vcc_lo
	v_lshrrev_b32_e32 v12, 2, v12
	v_cmp_lt_i32_e32 vcc_lo, 5, v23
	v_cmp_ne_u32_e64 s0, v16, v18
	v_and_or_b32 v3, 0xffe, v20, v4
	v_sub_nc_u32_e32 v4, 0x3f1, v21
	v_add_nc_u32_e32 v20, 0xfffffc10, v22
	v_cndmask_b32_e64 v16, 0, 1, s0
	v_cmp_eq_u32_e64 s0, 3, v23
	v_or_b32_e32 v18, 0x1000, v3
	v_med3_i32 v4, v4, 0, 13
	v_lshl_or_b32 v22, v20, 12, v6
	v_or_b32_e32 v14, v14, v16
	s_or_b32 vcc_lo, s0, vcc_lo
	v_add_co_ci_u32_e32 v12, vcc_lo, 0, v12, vcc_lo
	v_lshrrev_b32_e32 v16, v4, v18
	v_cmp_gt_i32_e32 vcc_lo, 1, v20
	v_lshlrev_b32_e32 v4, v4, v16
	v_cndmask_b32_e32 v14, v22, v14, vcc_lo
	v_cmp_ne_u32_e32 vcc_lo, 0, v8
	v_cndmask_b32_e64 v8, 0, 1, vcc_lo
	v_cmp_ne_u32_e32 vcc_lo, v4, v18
	v_add_nc_u32_e32 v18, 0xfffffc10, v21
	v_and_b32_e32 v21, 7, v14
	v_lshl_or_b32 v8, v8, 9, 0x7c00
	v_cndmask_b32_e64 v4, 0, 1, vcc_lo
	v_cmp_gt_i32_e32 vcc_lo, 31, v15
	v_cmp_gt_i32_e64 s1, 1, v18
	v_cmp_eq_u32_e64 s0, 3, v21
	v_or_b32_e32 v4, v16, v4
	v_lshl_or_b32 v16, v18, 12, v3
	v_cndmask_b32_e32 v12, 0x7c00, v12, vcc_lo
	v_cmp_lt_i32_e32 vcc_lo, 5, v21
	v_cndmask_b32_e64 v4, v16, v4, s1
	v_cmp_eq_u32_e64 s1, 0x40f, v15
	s_or_b32 vcc_lo, s0, vcc_lo
	v_cndmask_b32_e64 v8, v12, v8, s1
	v_lshrrev_b32_e32 v12, 2, v14
	v_and_b32_e32 v14, 7, v4
	v_lshrrev_b32_e32 v4, 2, v4
	v_cmp_gt_i32_e64 s1, 31, v20
	v_and_or_b32 v8, 0x8000, v9, v8
	v_add_co_ci_u32_e32 v12, vcc_lo, 0, v12, vcc_lo
	v_cmp_ne_u32_e32 vcc_lo, 0, v6
	v_cmp_eq_u32_e64 s0, 3, v14
	v_and_b32_e32 v9, 0xffff, v2
	v_cndmask_b32_e64 v12, 0x7c00, v12, s1
	v_cndmask_b32_e64 v6, 0, 1, vcc_lo
	v_cmp_lt_i32_e32 vcc_lo, 5, v14
	v_lshl_or_b32 v8, v8, 16, v9
	v_lshl_or_b32 v6, v6, 9, 0x7c00
	s_or_b32 vcc_lo, s0, vcc_lo
	v_add_co_ci_u32_e32 v4, vcc_lo, 0, v4, vcc_lo
	v_cmp_ne_u32_e32 vcc_lo, 0, v3
	v_cndmask_b32_e64 v3, 0, 1, vcc_lo
	v_cmp_eq_u32_e32 vcc_lo, 0x40f, v20
	v_lshl_or_b32 v3, v3, 9, 0x7c00
	v_cndmask_b32_e32 v6, v12, v6, vcc_lo
	v_cmp_gt_i32_e32 vcc_lo, 31, v18
	v_and_or_b32 v6, 0x8000, v7, v6
	v_cndmask_b32_e32 v4, 0x7c00, v4, vcc_lo
	v_cmp_eq_u32_e32 vcc_lo, 0x40f, v18
	v_and_b32_e32 v6, 0xffff, v6
	v_cndmask_b32_e32 v4, v4, v3, vcc_lo
	v_add_co_u32 v2, vcc_lo, v0, s17
	v_add_co_ci_u32_e32 v3, vcc_lo, s16, v1, vcc_lo
	v_and_or_b32 v7, 0x8000, v5, v4
	v_add_co_u32 v4, vcc_lo, v2, s17
	v_add_co_ci_u32_e32 v5, vcc_lo, s16, v3, vcc_lo
	v_lshl_or_b32 v9, v7, 16, v6
	v_add_co_u32 v6, vcc_lo, v4, s17
	v_add_co_ci_u32_e32 v7, vcc_lo, s16, v5, vcc_lo
	global_store_dword v[10:11], v17, off
	global_store_dword v[0:1], v19, off
	;; [unrolled: 1-line block ×5, first 2 shown]
.LBB0_31:
	s_endpgm
	.section	.rodata,"a",@progbits
	.p2align	6, 0x0
	.amdhsa_kernel bluestein_single_back_len1980_dim1_half_op_CI_CI
		.amdhsa_group_segment_fixed_size 7920
		.amdhsa_private_segment_fixed_size 0
		.amdhsa_kernarg_size 104
		.amdhsa_user_sgpr_count 6
		.amdhsa_user_sgpr_private_segment_buffer 1
		.amdhsa_user_sgpr_dispatch_ptr 0
		.amdhsa_user_sgpr_queue_ptr 0
		.amdhsa_user_sgpr_kernarg_segment_ptr 1
		.amdhsa_user_sgpr_dispatch_id 0
		.amdhsa_user_sgpr_flat_scratch_init 0
		.amdhsa_user_sgpr_private_segment_size 0
		.amdhsa_wavefront_size32 1
		.amdhsa_uses_dynamic_stack 0
		.amdhsa_system_sgpr_private_segment_wavefront_offset 0
		.amdhsa_system_sgpr_workgroup_id_x 1
		.amdhsa_system_sgpr_workgroup_id_y 0
		.amdhsa_system_sgpr_workgroup_id_z 0
		.amdhsa_system_sgpr_workgroup_info 0
		.amdhsa_system_vgpr_workitem_id 0
		.amdhsa_next_free_vgpr 155
		.amdhsa_next_free_sgpr 18
		.amdhsa_reserve_vcc 1
		.amdhsa_reserve_flat_scratch 0
		.amdhsa_float_round_mode_32 0
		.amdhsa_float_round_mode_16_64 0
		.amdhsa_float_denorm_mode_32 3
		.amdhsa_float_denorm_mode_16_64 3
		.amdhsa_dx10_clamp 1
		.amdhsa_ieee_mode 1
		.amdhsa_fp16_overflow 0
		.amdhsa_workgroup_processor_mode 1
		.amdhsa_memory_ordered 1
		.amdhsa_forward_progress 0
		.amdhsa_shared_vgpr_count 0
		.amdhsa_exception_fp_ieee_invalid_op 0
		.amdhsa_exception_fp_denorm_src 0
		.amdhsa_exception_fp_ieee_div_zero 0
		.amdhsa_exception_fp_ieee_overflow 0
		.amdhsa_exception_fp_ieee_underflow 0
		.amdhsa_exception_fp_ieee_inexact 0
		.amdhsa_exception_int_div_zero 0
	.end_amdhsa_kernel
	.text
.Lfunc_end0:
	.size	bluestein_single_back_len1980_dim1_half_op_CI_CI, .Lfunc_end0-bluestein_single_back_len1980_dim1_half_op_CI_CI
                                        ; -- End function
	.section	.AMDGPU.csdata,"",@progbits
; Kernel info:
; codeLenInByte = 22612
; NumSgprs: 20
; NumVgprs: 155
; ScratchSize: 0
; MemoryBound: 0
; FloatMode: 240
; IeeeMode: 1
; LDSByteSize: 7920 bytes/workgroup (compile time only)
; SGPRBlocks: 2
; VGPRBlocks: 19
; NumSGPRsForWavesPerEU: 20
; NumVGPRsForWavesPerEU: 155
; Occupancy: 6
; WaveLimiterHint : 1
; COMPUTE_PGM_RSRC2:SCRATCH_EN: 0
; COMPUTE_PGM_RSRC2:USER_SGPR: 6
; COMPUTE_PGM_RSRC2:TRAP_HANDLER: 0
; COMPUTE_PGM_RSRC2:TGID_X_EN: 1
; COMPUTE_PGM_RSRC2:TGID_Y_EN: 0
; COMPUTE_PGM_RSRC2:TGID_Z_EN: 0
; COMPUTE_PGM_RSRC2:TIDIG_COMP_CNT: 0
	.text
	.p2alignl 6, 3214868480
	.fill 48, 4, 3214868480
	.type	__hip_cuid_6c0ef78c585374ce,@object ; @__hip_cuid_6c0ef78c585374ce
	.section	.bss,"aw",@nobits
	.globl	__hip_cuid_6c0ef78c585374ce
__hip_cuid_6c0ef78c585374ce:
	.byte	0                               ; 0x0
	.size	__hip_cuid_6c0ef78c585374ce, 1

	.ident	"AMD clang version 19.0.0git (https://github.com/RadeonOpenCompute/llvm-project roc-6.4.0 25133 c7fe45cf4b819c5991fe208aaa96edf142730f1d)"
	.section	".note.GNU-stack","",@progbits
	.addrsig
	.addrsig_sym __hip_cuid_6c0ef78c585374ce
	.amdgpu_metadata
---
amdhsa.kernels:
  - .args:
      - .actual_access:  read_only
        .address_space:  global
        .offset:         0
        .size:           8
        .value_kind:     global_buffer
      - .actual_access:  read_only
        .address_space:  global
        .offset:         8
        .size:           8
        .value_kind:     global_buffer
      - .actual_access:  read_only
        .address_space:  global
        .offset:         16
        .size:           8
        .value_kind:     global_buffer
      - .actual_access:  read_only
        .address_space:  global
        .offset:         24
        .size:           8
        .value_kind:     global_buffer
      - .actual_access:  read_only
        .address_space:  global
        .offset:         32
        .size:           8
        .value_kind:     global_buffer
      - .offset:         40
        .size:           8
        .value_kind:     by_value
      - .address_space:  global
        .offset:         48
        .size:           8
        .value_kind:     global_buffer
      - .address_space:  global
        .offset:         56
        .size:           8
        .value_kind:     global_buffer
      - .address_space:  global
        .offset:         64
        .size:           8
        .value_kind:     global_buffer
      - .address_space:  global
        .offset:         72
        .size:           8
        .value_kind:     global_buffer
      - .offset:         80
        .size:           4
        .value_kind:     by_value
      - .address_space:  global
        .offset:         88
        .size:           8
        .value_kind:     global_buffer
      - .address_space:  global
        .offset:         96
        .size:           8
        .value_kind:     global_buffer
    .group_segment_fixed_size: 7920
    .kernarg_segment_align: 8
    .kernarg_segment_size: 104
    .language:       OpenCL C
    .language_version:
      - 2
      - 0
    .max_flat_workgroup_size: 198
    .name:           bluestein_single_back_len1980_dim1_half_op_CI_CI
    .private_segment_fixed_size: 0
    .sgpr_count:     20
    .sgpr_spill_count: 0
    .symbol:         bluestein_single_back_len1980_dim1_half_op_CI_CI.kd
    .uniform_work_group_size: 1
    .uses_dynamic_stack: false
    .vgpr_count:     155
    .vgpr_spill_count: 0
    .wavefront_size: 32
    .workgroup_processor_mode: 1
amdhsa.target:   amdgcn-amd-amdhsa--gfx1030
amdhsa.version:
  - 1
  - 2
...

	.end_amdgpu_metadata
